;; amdgpu-corpus repo=ROCm/rocFFT kind=compiled arch=gfx1201 opt=O3
	.text
	.amdgcn_target "amdgcn-amd-amdhsa--gfx1201"
	.amdhsa_code_object_version 6
	.protected	bluestein_single_back_len1690_dim1_dp_op_CI_CI ; -- Begin function bluestein_single_back_len1690_dim1_dp_op_CI_CI
	.globl	bluestein_single_back_len1690_dim1_dp_op_CI_CI
	.p2align	8
	.type	bluestein_single_back_len1690_dim1_dp_op_CI_CI,@function
bluestein_single_back_len1690_dim1_dp_op_CI_CI: ; @bluestein_single_back_len1690_dim1_dp_op_CI_CI
; %bb.0:
	s_load_b128 s[8:11], s[0:1], 0x28
	v_mul_u32_u24_e32 v1, 0x184, v0
	s_mov_b32 s2, exec_lo
	v_mov_b32_e32 v4, 0
	s_delay_alu instid0(VALU_DEP_2) | instskip(NEXT) | instid1(VALU_DEP_1)
	v_lshrrev_b32_e32 v1, 16, v1
	v_add_nc_u32_e32 v3, ttmp9, v1
	s_delay_alu instid0(VALU_DEP_1)
	v_mov_b32_e32 v2, v3
	scratch_store_b64 off, v[2:3], off offset:4 ; 8-byte Folded Spill
	s_wait_kmcnt 0x0
	v_cmpx_gt_u64_e64 s[8:9], v[3:4]
	s_cbranch_execz .LBB0_23
; %bb.1:
	s_clause 0x1
	s_load_b64 s[8:9], s[0:1], 0x0
	s_load_b64 s[12:13], s[0:1], 0x38
	v_mul_lo_u16 v1, 0xa9, v1
	s_delay_alu instid0(VALU_DEP_1) | instskip(NEXT) | instid1(VALU_DEP_1)
	v_sub_nc_u16 v0, v0, v1
	v_and_b32_e32 v1, 0xffff, v0
	v_cmp_gt_u16_e32 vcc_lo, 0x82, v0
	s_delay_alu instid0(VALU_DEP_2)
	v_lshlrev_b32_e32 v255, 4, v1
	scratch_store_b32 off, v1, off          ; 4-byte Folded Spill
	s_and_saveexec_b32 s3, vcc_lo
	s_cbranch_execz .LBB0_3
; %bb.2:
	s_clause 0x1
	scratch_load_b64 v[0:1], off, off offset:4
	scratch_load_b32 v5, off, off
	s_load_b64 s[4:5], s[0:1], 0x18
	s_wait_kmcnt 0x0
	s_load_b128 s[4:7], s[4:5], 0x0
	s_wait_loadcnt 0x0
	s_wait_kmcnt 0x0
	v_mad_co_u64_u32 v[16:17], null, s4, v5, 0
	s_delay_alu instid0(VALU_DEP_1) | instskip(NEXT) | instid1(VALU_DEP_1)
	v_dual_mov_b32 v3, v0 :: v_dual_mov_b32 v2, v17
	v_mad_co_u64_u32 v[0:1], null, s6, v3, 0
	s_delay_alu instid0(VALU_DEP_1) | instskip(NEXT) | instid1(VALU_DEP_1)
	v_mad_co_u64_u32 v[3:4], null, s7, v3, v[1:2]
	v_mad_co_u64_u32 v[4:5], null, s5, v5, v[2:3]
	v_mov_b32_e32 v1, v3
	s_mul_u64 s[4:5], s[4:5], 0x820
	s_delay_alu instid0(VALU_DEP_1) | instskip(NEXT) | instid1(VALU_DEP_3)
	v_lshlrev_b64_e32 v[18:19], 4, v[0:1]
	v_mov_b32_e32 v17, v4
	s_clause 0x3
	global_load_b128 v[0:3], v255, s[8:9]
	global_load_b128 v[4:7], v255, s[8:9] offset:2080
	global_load_b128 v[8:11], v255, s[8:9] offset:4160
	;; [unrolled: 1-line block ×3, first 2 shown]
	v_add_co_u32 v26, s2, s10, v18
	v_lshlrev_b64_e32 v[24:25], 4, v[16:17]
	v_add_co_ci_u32_e64 v27, s2, s11, v19, s2
	s_clause 0x1
	global_load_b128 v[16:19], v255, s[8:9] offset:8320
	global_load_b128 v[20:23], v255, s[8:9] offset:10400
	v_add_co_u32 v40, s2, v26, v24
	s_wait_alu 0xf1ff
	v_add_co_ci_u32_e64 v41, s2, v27, v25, s2
	s_clause 0x1
	global_load_b128 v[24:27], v255, s[8:9] offset:12480
	global_load_b128 v[28:31], v255, s[8:9] offset:14560
	s_wait_alu 0xfffe
	v_add_co_u32 v44, s2, v40, s4
	s_wait_alu 0xf1ff
	v_add_co_ci_u32_e64 v45, s2, s5, v41, s2
	s_clause 0x1
	global_load_b128 v[32:35], v255, s[8:9] offset:16640
	global_load_b128 v[36:39], v255, s[8:9] offset:18720
	v_add_co_u32 v48, s2, v44, s4
	s_wait_alu 0xf1ff
	v_add_co_ci_u32_e64 v49, s2, s5, v45, s2
	s_clause 0x1
	global_load_b128 v[40:43], v[40:41], off
	global_load_b128 v[44:47], v[44:45], off
	v_add_co_u32 v52, s2, v48, s4
	s_wait_alu 0xf1ff
	v_add_co_ci_u32_e64 v53, s2, s5, v49, s2
	s_delay_alu instid0(VALU_DEP_2) | instskip(SKIP_1) | instid1(VALU_DEP_2)
	v_add_co_u32 v56, s2, v52, s4
	s_wait_alu 0xf1ff
	v_add_co_ci_u32_e64 v57, s2, s5, v53, s2
	s_clause 0x1
	global_load_b128 v[48:51], v[48:49], off
	global_load_b128 v[52:55], v[52:53], off
	v_add_co_u32 v60, s2, v56, s4
	s_wait_alu 0xf1ff
	v_add_co_ci_u32_e64 v61, s2, s5, v57, s2
	global_load_b128 v[56:59], v[56:57], off
	v_add_co_u32 v64, s2, v60, s4
	s_wait_alu 0xf1ff
	v_add_co_ci_u32_e64 v65, s2, s5, v61, s2
	global_load_b128 v[60:63], v[60:61], off
	v_add_co_u32 v68, s2, v64, s4
	s_wait_alu 0xf1ff
	v_add_co_ci_u32_e64 v69, s2, s5, v65, s2
	global_load_b128 v[64:67], v[64:65], off
	v_add_co_u32 v72, s2, v68, s4
	s_wait_alu 0xf1ff
	v_add_co_ci_u32_e64 v73, s2, s5, v69, s2
	global_load_b128 v[68:71], v[68:69], off
	v_add_co_u32 v76, s2, v72, s4
	s_wait_alu 0xf1ff
	v_add_co_ci_u32_e64 v77, s2, s5, v73, s2
	global_load_b128 v[72:75], v[72:73], off
	v_add_co_u32 v80, s2, v76, s4
	s_wait_alu 0xf1ff
	v_add_co_ci_u32_e64 v81, s2, s5, v77, s2
	global_load_b128 v[76:79], v[76:77], off
	v_add_co_u32 v92, s2, v80, s4
	s_wait_alu 0xf1ff
	v_add_co_ci_u32_e64 v93, s2, s5, v81, s2
	global_load_b128 v[80:83], v[80:81], off
	v_add_co_u32 v100, s2, v92, s4
	s_wait_alu 0xf1ff
	v_add_co_ci_u32_e64 v101, s2, s5, v93, s2
	s_clause 0x1
	global_load_b128 v[84:87], v255, s[8:9] offset:20800
	global_load_b128 v[88:91], v255, s[8:9] offset:22880
	global_load_b128 v[92:95], v[92:93], off
	global_load_b128 v[96:99], v255, s[8:9] offset:24960
	global_load_b128 v[100:103], v[100:101], off
	s_wait_loadcnt 0xf
	v_mul_f64_e32 v[104:105], v[42:43], v[2:3]
	v_mul_f64_e32 v[2:3], v[40:41], v[2:3]
	s_wait_loadcnt 0xe
	v_mul_f64_e32 v[106:107], v[46:47], v[6:7]
	v_mul_f64_e32 v[6:7], v[44:45], v[6:7]
	;; [unrolled: 3-line block ×10, first 2 shown]
	v_fma_f64 v[38:39], v[40:41], v[0:1], v[104:105]
	v_fma_f64 v[40:41], v[42:43], v[0:1], -v[2:3]
	v_fma_f64 v[0:1], v[44:45], v[4:5], v[106:107]
	v_fma_f64 v[2:3], v[46:47], v[4:5], -v[6:7]
	s_wait_loadcnt 0x4
	v_mul_f64_e32 v[126:127], v[82:83], v[86:87]
	v_mul_f64_e32 v[86:87], v[80:81], v[86:87]
	s_wait_loadcnt 0x2
	v_mul_f64_e32 v[128:129], v[94:95], v[90:91]
	v_mul_f64_e32 v[90:91], v[92:93], v[90:91]
	;; [unrolled: 3-line block ×3, first 2 shown]
	v_fma_f64 v[4:5], v[48:49], v[8:9], v[108:109]
	v_fma_f64 v[6:7], v[50:51], v[8:9], -v[10:11]
	v_fma_f64 v[8:9], v[52:53], v[12:13], v[110:111]
	v_fma_f64 v[10:11], v[54:55], v[12:13], -v[14:15]
	;; [unrolled: 2-line block ×11, first 2 shown]
	ds_store_b128 v255, v[38:41]
	ds_store_b128 v255, v[0:3] offset:2080
	ds_store_b128 v255, v[4:7] offset:4160
	;; [unrolled: 1-line block ×12, first 2 shown]
.LBB0_3:
	s_or_b32 exec_lo, exec_lo, s3
	s_load_b64 s[2:3], s[0:1], 0x20
	global_wb scope:SCOPE_SE
	s_wait_storecnt_dscnt 0x0
	s_wait_kmcnt 0x0
	s_barrier_signal -1
	s_barrier_wait -1
	global_inv scope:SCOPE_SE
                                        ; implicit-def: $vgpr16_vgpr17
                                        ; implicit-def: $vgpr32_vgpr33
                                        ; implicit-def: $vgpr36_vgpr37
                                        ; implicit-def: $vgpr44_vgpr45
                                        ; implicit-def: $vgpr48_vgpr49
                                        ; implicit-def: $vgpr40_vgpr41
                                        ; implicit-def: $vgpr28_vgpr29
                                        ; implicit-def: $vgpr24_vgpr25
                                        ; implicit-def: $vgpr20_vgpr21
                                        ; implicit-def: $vgpr12_vgpr13
                                        ; implicit-def: $vgpr8_vgpr9
                                        ; implicit-def: $vgpr4_vgpr5
                                        ; implicit-def: $vgpr0_vgpr1
	s_and_saveexec_b32 s4, vcc_lo
	s_cbranch_execz .LBB0_5
; %bb.4:
	ds_load_b128 v[16:19], v255
	ds_load_b128 v[32:35], v255 offset:2080
	ds_load_b128 v[36:39], v255 offset:4160
	;; [unrolled: 1-line block ×12, first 2 shown]
.LBB0_5:
	s_wait_alu 0xfffe
	s_or_b32 exec_lo, exec_lo, s4
	s_wait_dscnt 0x0
	v_add_f64_e64 v[173:174], v[34:35], -v[2:3]
	v_add_f64_e64 v[96:97], v[32:33], -v[0:1]
	scratch_load_b32 v148, off, off         ; 4-byte Folded Reload
	s_mov_b32 s4, 0x4267c47c
	s_mov_b32 s10, 0x42a4c3d2
	;; [unrolled: 1-line block ×6, first 2 shown]
	v_add_f64_e32 v[94:95], v[32:33], v[0:1]
	v_add_f64_e32 v[171:172], v[34:35], v[2:3]
	v_add_f64_e64 v[155:156], v[38:39], -v[6:7]
	v_add_f64_e64 v[60:61], v[36:37], -v[4:5]
	s_mov_b32 s18, 0xe00740e9
	s_mov_b32 s6, 0x1ea71119
	;; [unrolled: 1-line block ×10, first 2 shown]
	v_add_f64_e32 v[64:65], v[36:37], v[4:5]
	v_add_f64_e32 v[175:176], v[38:39], v[6:7]
	v_add_f64_e64 v[181:182], v[46:47], -v[10:11]
	v_add_f64_e64 v[102:103], v[44:45], -v[8:9]
	s_mov_b32 s22, 0xb2365da1
	s_mov_b32 s28, 0x93053d00
	;; [unrolled: 1-line block ×6, first 2 shown]
	v_add_f64_e32 v[132:133], v[44:45], v[8:9]
	v_add_f64_e32 v[183:184], v[46:47], v[10:11]
	v_add_f64_e64 v[62:63], v[48:49], -v[12:13]
	v_add_f64_e64 v[82:83], v[50:51], -v[14:15]
	s_mov_b32 s36, 0x24c2f84
	s_wait_alu 0xfffe
	v_mul_f64_e32 v[157:158], s[4:5], v[173:174]
	v_mul_f64_e32 v[159:160], s[4:5], v[96:97]
	;; [unrolled: 1-line block ×6, first 2 shown]
	s_mov_b32 s37, 0x3fe5384d
	s_mov_b32 s31, 0x3fddbe06
	;; [unrolled: 1-line block ×3, first 2 shown]
	v_add_f64_e32 v[151:152], v[50:51], v[14:15]
	v_add_f64_e64 v[72:73], v[40:41], -v[20:21]
	v_mul_f64_e32 v[74:75], s[10:11], v[155:156]
	v_mul_f64_e32 v[76:77], s[10:11], v[60:61]
	;; [unrolled: 1-line block ×6, first 2 shown]
	v_add_f64_e64 v[146:147], v[42:43], -v[22:23]
	s_mov_b32 s38, 0xd0032e0c
	s_mov_b32 s39, 0xbfe7f3cc
	;; [unrolled: 1-line block ×6, first 2 shown]
	v_add_f64_e32 v[161:162], v[42:43], v[22:23]
	v_mul_f64_e32 v[106:107], s[14:15], v[181:182]
	v_mul_f64_e32 v[116:117], s[14:15], v[102:103]
	;; [unrolled: 1-line block ×6, first 2 shown]
	v_add_f64_e64 v[177:178], v[30:31], -v[26:27]
	s_load_b64 s[0:1], s[0:1], 0x8
	v_mul_f64_e32 v[110:111], s[20:21], v[62:63]
	v_mul_f64_e32 v[104:105], s[20:21], v[82:83]
	v_mul_f64_e32 v[114:115], s[36:37], v[82:83]
	v_fma_f64 v[52:53], v[94:95], s[18:19], v[157:158]
	v_fma_f64 v[54:55], v[171:172], s[18:19], -v[159:160]
	v_fma_f64 v[56:57], v[94:95], s[6:7], v[163:164]
	v_fma_f64 v[58:59], v[171:172], s[6:7], -v[165:166]
	;; [unrolled: 2-line block ×3, first 2 shown]
	v_mul_f64_e32 v[118:119], s[36:37], v[62:63]
	v_mul_f64_e32 v[120:121], s[30:31], v[82:83]
	;; [unrolled: 1-line block ×4, first 2 shown]
	v_fma_f64 v[70:71], v[64:65], s[6:7], v[74:75]
	v_fma_f64 v[78:79], v[175:176], s[6:7], -v[76:77]
	v_fma_f64 v[80:81], v[64:65], s[22:23], v[86:87]
	v_fma_f64 v[90:91], v[175:176], s[22:23], -v[88:89]
	;; [unrolled: 2-line block ×3, first 2 shown]
	v_mul_f64_e32 v[128:129], s[40:41], v[146:147]
	v_mul_f64_e32 v[136:137], s[34:35], v[146:147]
	;; [unrolled: 1-line block ×5, first 2 shown]
	v_fma_f64 v[112:113], v[132:133], s[16:17], v[106:107]
	v_fma_f64 v[124:125], v[183:184], s[16:17], -v[116:117]
	v_fma_f64 v[130:131], v[132:133], s[28:29], v[122:123]
	v_fma_f64 v[179:180], v[183:184], s[28:29], -v[142:143]
	;; [unrolled: 2-line block ×3, first 2 shown]
	v_fma_f64 v[191:192], v[151:152], s[22:23], -v[110:111]
	v_add_f64_e32 v[52:53], v[16:17], v[52:53]
	v_add_f64_e32 v[54:55], v[18:19], v[54:55]
	;; [unrolled: 1-line block ×7, first 2 shown]
	v_fma_f64 v[195:196], v[151:152], s[38:39], -v[118:119]
	v_fma_f64 v[199:200], v[151:152], s[18:19], -v[126:127]
	;; [unrolled: 1-line block ×4, first 2 shown]
	v_add_f64_e32 v[52:53], v[70:71], v[52:53]
	v_add_f64_e32 v[54:55], v[78:79], v[54:55]
	;; [unrolled: 1-line block ×7, first 2 shown]
	v_add_f64_e64 v[78:79], v[28:29], -v[24:25]
	v_fma_f64 v[189:190], v[66:67], s[22:23], v[104:105]
	v_fma_f64 v[193:194], v[66:67], s[38:39], v[114:115]
	;; [unrolled: 1-line block ×3, first 2 shown]
	v_add_f64_e32 v[90:91], v[28:29], v[24:25]
	v_mul_f64_e32 v[92:93], s[26:27], v[177:178]
	v_mul_f64_e32 v[108:109], s[30:31], v[177:178]
	v_add_f64_e32 v[52:53], v[112:113], v[52:53]
	v_add_f64_e32 v[54:55], v[124:125], v[54:55]
	;; [unrolled: 1-line block ×7, first 2 shown]
	v_mul_f64_e32 v[100:101], s[26:27], v[78:79]
	v_mul_f64_e32 v[112:113], s[30:31], v[78:79]
	;; [unrolled: 1-line block ×4, first 2 shown]
	v_fma_f64 v[185:186], v[80:81], s[38:39], v[128:129]
	v_fma_f64 v[187:188], v[161:162], s[38:39], -v[134:135]
	v_fma_f64 v[201:202], v[80:81], s[16:17], v[136:137]
	v_fma_f64 v[205:206], v[80:81], s[6:7], v[140:141]
	v_add_f64_e32 v[52:53], v[189:190], v[52:53]
	v_add_f64_e32 v[54:55], v[191:192], v[54:55]
	;; [unrolled: 1-line block ×6, first 2 shown]
	v_fma_f64 v[189:190], v[90:91], s[28:29], v[92:93]
	v_fma_f64 v[191:192], v[179:180], s[28:29], -v[100:101]
	v_fma_f64 v[193:194], v[90:91], s[18:19], v[108:109]
	v_fma_f64 v[195:196], v[179:180], s[18:19], -v[112:113]
	;; [unrolled: 2-line block ×3, first 2 shown]
	v_add_f64_e32 v[52:53], v[185:186], v[52:53]
	v_add_f64_e32 v[54:55], v[187:188], v[54:55]
	v_add_f64_e32 v[185:186], v[201:202], v[56:57]
	v_add_f64_e32 v[187:188], v[203:204], v[58:59]
	v_add_f64_e32 v[70:71], v[205:206], v[70:71]
	v_add_f64_e32 v[201:202], v[207:208], v[68:69]
	v_add_f64_e32 v[56:57], v[189:190], v[52:53]
	v_add_f64_e32 v[58:59], v[191:192], v[54:55]
	v_add_f64_e32 v[52:53], v[193:194], v[185:186]
	v_add_f64_e32 v[54:55], v[195:196], v[187:188]
	v_add_f64_e32 v[68:69], v[197:198], v[70:71]
	v_add_f64_e32 v[70:71], v[199:200], v[201:202]
	s_wait_loadcnt 0x0
	v_mul_lo_u16 v148, v148, 13
	scratch_store_b32 off, v148, off offset:12 ; 4-byte Folded Spill
	global_wb scope:SCOPE_SE
	s_wait_storecnt 0x0
	s_wait_kmcnt 0x0
	s_barrier_signal -1
	s_barrier_wait -1
	global_inv scope:SCOPE_SE
	s_and_saveexec_b32 s33, vcc_lo
	s_cbranch_execz .LBB0_7
; %bb.6:
	v_add_f64_e32 v[34:35], v[18:19], v[34:35]
	v_add_f64_e32 v[32:33], v[16:17], v[32:33]
	v_mul_f64_e32 v[185:186], s[18:19], v[171:172]
	v_mul_f64_e32 v[187:188], s[6:7], v[94:95]
	;; [unrolled: 1-line block ×6, first 2 shown]
	s_mov_b32 s45, 0x3fcea1e5
	s_mov_b32 s44, s26
	;; [unrolled: 1-line block ×4, first 2 shown]
	v_mul_f64_e32 v[195:196], s[6:7], v[175:176]
	v_mul_f64_e32 v[197:198], s[22:23], v[64:65]
	;; [unrolled: 1-line block ×20, first 2 shown]
	v_add_f64_e32 v[34:35], v[34:35], v[38:39]
	v_add_f64_e32 v[32:33], v[32:33], v[36:37]
	v_mul_f64_e32 v[36:37], s[28:29], v[171:172]
	v_mul_f64_e32 v[38:39], s[26:27], v[173:174]
	v_add_f64_e64 v[163:164], v[187:188], -v[163:164]
	v_add_f64_e64 v[167:168], v[191:192], -v[167:168]
	v_add_f64_e32 v[159:160], v[159:160], v[185:186]
	v_fma_f64 v[249:250], v[102:103], s[42:43], v[223:224]
	v_mul_f64_e32 v[185:186], s[16:17], v[80:81]
	v_mul_f64_e32 v[187:188], s[16:17], v[161:162]
	v_add_f64_e32 v[76:77], v[76:77], v[195:196]
	v_add_f64_e64 v[86:87], v[197:198], -v[86:87]
	v_add_f64_e32 v[88:89], v[88:89], v[199:200]
	v_add_f64_e32 v[98:99], v[98:99], v[203:204]
	v_mul_f64_e32 v[195:196], s[14:15], v[82:83]
	v_add_f64_e32 v[142:143], v[142:143], v[211:212]
	v_mul_f64_e32 v[211:212], s[28:29], v[151:152]
	v_add_f64_e32 v[153:154], v[153:154], v[215:216]
	v_fma_f64 v[247:248], v[64:65], s[18:19], v[219:220]
	v_fma_f64 v[219:220], v[64:65], s[18:19], -v[219:220]
	v_add_f64_e32 v[116:117], v[116:117], v[207:208]
	v_mul_f64_e32 v[215:216], s[6:7], v[161:162]
	v_mul_f64_e32 v[199:200], s[18:19], v[90:91]
	v_add_f64_e64 v[74:75], v[193:194], -v[74:75]
	v_add_f64_e64 v[84:85], v[201:202], -v[84:85]
	v_mul_f64_e32 v[201:202], s[6:7], v[151:152]
	v_add_f64_e64 v[122:123], v[209:210], -v[122:123]
	v_add_f64_e64 v[148:149], v[213:214], -v[149:150]
	;; [unrolled: 1-line block ×3, first 2 shown]
	v_mul_f64_e32 v[205:206], s[22:23], v[161:162]
	v_add_f64_e32 v[110:111], v[110:111], v[225:226]
	v_add_f64_e64 v[104:105], v[221:222], -v[104:105]
	v_mul_f64_e32 v[197:198], s[18:19], v[179:180]
	v_mul_f64_e32 v[193:194], s[38:39], v[90:91]
	;; [unrolled: 1-line block ×4, first 2 shown]
	v_add_f64_e32 v[34:35], v[34:35], v[46:47]
	v_add_f64_e32 v[32:33], v[32:33], v[44:45]
	v_mul_f64_e32 v[44:45], s[38:39], v[171:172]
	v_mul_f64_e32 v[46:47], s[40:41], v[173:174]
	;; [unrolled: 1-line block ×3, first 2 shown]
	v_fma_f64 v[233:234], v[96:97], s[44:45], v[36:37]
	v_fma_f64 v[235:236], v[94:95], s[28:29], v[38:39]
	;; [unrolled: 1-line block ×3, first 2 shown]
	v_fma_f64 v[38:39], v[94:95], s[28:29], -v[38:39]
	v_add_f64_e32 v[167:168], v[16:17], v[167:168]
	v_add_f64_e32 v[163:164], v[16:17], v[163:164]
	v_add_f64_e64 v[136:137], v[185:186], -v[136:137]
	v_add_f64_e32 v[138:139], v[138:139], v[187:188]
	v_mul_f64_e32 v[213:214], s[28:29], v[179:180]
	v_mul_f64_e32 v[203:204], s[28:29], v[90:91]
	v_add_f64_e64 v[108:109], v[199:200], -v[108:109]
	v_add_f64_e32 v[34:35], v[34:35], v[50:51]
	v_add_f64_e32 v[32:33], v[32:33], v[48:49]
	v_mul_f64_e32 v[48:49], s[22:23], v[171:172]
	v_mul_f64_e32 v[50:51], s[18:19], v[94:95]
	;; [unrolled: 1-line block ×3, first 2 shown]
	v_fma_f64 v[237:238], v[96:97], s[36:37], v[44:45]
	v_fma_f64 v[44:45], v[96:97], s[40:41], v[44:45]
	;; [unrolled: 1-line block ×3, first 2 shown]
	v_fma_f64 v[46:47], v[94:95], s[38:39], -v[46:47]
	v_fma_f64 v[243:244], v[94:95], s[22:23], v[173:174]
	v_fma_f64 v[94:95], v[94:95], s[22:23], -v[173:174]
	v_add_f64_e32 v[233:234], v[18:19], v[233:234]
	v_add_f64_e32 v[235:236], v[16:17], v[235:236]
	;; [unrolled: 1-line block ×5, first 2 shown]
	v_mul_f64_e32 v[173:174], s[38:39], v[161:162]
	v_fma_f64 v[163:164], v[66:67], s[16:17], v[195:196]
	v_add_f64_e32 v[84:85], v[84:85], v[167:168]
	v_add_f64_e32 v[100:101], v[100:101], v[213:214]
	v_add_f64_e64 v[92:93], v[203:204], -v[92:93]
	v_add_f64_e32 v[34:35], v[34:35], v[42:43]
	v_add_f64_e32 v[32:33], v[32:33], v[40:41]
	v_mul_f64_e32 v[40:41], s[18:19], v[175:176]
	v_mul_f64_e32 v[42:43], s[40:41], v[181:182]
	;; [unrolled: 1-line block ×4, first 2 shown]
	v_fma_f64 v[241:242], v[96:97], s[24:25], v[48:49]
	v_fma_f64 v[48:49], v[96:97], s[20:21], v[48:49]
	v_add_f64_e32 v[96:97], v[169:170], v[189:190]
	v_add_f64_e32 v[165:166], v[165:166], v[171:172]
	v_add_f64_e64 v[50:51], v[50:51], -v[157:158]
	v_add_f64_e32 v[44:45], v[18:19], v[44:45]
	v_fma_f64 v[189:190], v[102:103], s[36:37], v[217:218]
	v_fma_f64 v[217:218], v[102:103], s[40:41], v[217:218]
	v_add_f64_e32 v[237:238], v[18:19], v[237:238]
	v_add_f64_e32 v[239:240], v[16:17], v[239:240]
	;; [unrolled: 1-line block ×5, first 2 shown]
	v_mul_f64_e32 v[157:158], s[38:39], v[66:67]
	v_mul_f64_e32 v[169:170], s[18:19], v[151:152]
	v_add_f64_e32 v[38:39], v[219:220], v[38:39]
	v_mul_f64_e32 v[219:220], s[42:43], v[82:83]
	v_mul_f64_e32 v[82:83], s[44:45], v[82:83]
	v_add_f64_e32 v[235:236], v[247:248], v[235:236]
	;; [unrolled: 3-line block ×3, first 2 shown]
	v_add_f64_e32 v[84:85], v[148:149], v[84:85]
	v_add_f64_e32 v[30:31], v[34:35], v[30:31]
	;; [unrolled: 1-line block ×3, first 2 shown]
	v_fma_f64 v[191:192], v[60:61], s[4:5], v[40:41]
	v_fma_f64 v[245:246], v[132:133], s[38:39], v[42:43]
	;; [unrolled: 1-line block ×3, first 2 shown]
	v_fma_f64 v[42:43], v[132:133], s[38:39], -v[42:43]
	v_add_f64_e32 v[241:242], v[18:19], v[241:242]
	v_add_f64_e32 v[48:49], v[18:19], v[48:49]
	;; [unrolled: 1-line block ×6, first 2 shown]
	v_fma_f64 v[50:51], v[60:61], s[14:15], v[227:228]
	v_fma_f64 v[159:160], v[132:133], s[6:7], v[229:230]
	v_mul_f64_e32 v[32:33], s[38:39], v[151:152]
	v_mul_f64_e32 v[34:35], s[18:19], v[66:67]
	;; [unrolled: 1-line block ×3, first 2 shown]
	v_add_f64_e64 v[114:115], v[157:158], -v[114:115]
	v_add_f64_e32 v[126:127], v[126:127], v[169:170]
	v_fma_f64 v[157:158], v[66:67], s[28:29], v[82:83]
	v_add_f64_e64 v[128:129], v[171:172], -v[128:129]
	v_add_f64_e32 v[26:27], v[30:31], v[26:27]
	v_fma_f64 v[30:31], v[102:103], s[10:11], v[223:224]
	v_fma_f64 v[223:224], v[60:61], s[34:35], v[227:228]
	v_add_f64_e32 v[24:25], v[28:29], v[24:25]
	v_fma_f64 v[28:29], v[64:65], s[16:17], v[231:232]
	v_fma_f64 v[227:228], v[132:133], s[6:7], -v[229:230]
	v_fma_f64 v[229:230], v[64:65], s[16:17], -v[231:232]
	v_fma_f64 v[231:232], v[102:103], s[4:5], v[183:184]
	v_fma_f64 v[102:103], v[102:103], s[30:31], v[183:184]
	;; [unrolled: 1-line block ×5, first 2 shown]
	v_fma_f64 v[132:133], v[132:133], s[18:19], -v[181:182]
	v_fma_f64 v[181:182], v[64:65], s[38:39], v[155:156]
	v_fma_f64 v[64:65], v[64:65], s[38:39], -v[155:156]
	v_add_f64_e32 v[191:192], v[191:192], v[233:234]
	v_add_f64_e32 v[36:37], v[40:41], v[36:37]
	;; [unrolled: 1-line block ×3, first 2 shown]
	v_mul_f64_e32 v[237:238], s[18:19], v[161:162]
	v_add_f64_e32 v[88:89], v[88:89], v[165:166]
	v_add_f64_e32 v[18:19], v[76:77], v[18:19]
	v_fma_f64 v[76:77], v[62:63], s[44:45], v[211:212]
	v_mul_f64_e32 v[40:41], s[22:23], v[179:180]
	v_mul_f64_e32 v[161:162], s[28:29], v[161:162]
	v_add_f64_e32 v[16:17], v[74:75], v[16:17]
	v_fma_f64 v[74:75], v[62:63], s[26:27], v[211:212]
	v_add_f64_e64 v[34:35], v[34:35], -v[120:121]
	v_add_f64_e32 v[32:33], v[118:119], v[32:33]
	v_fma_f64 v[118:119], v[66:67], s[6:7], v[219:220]
	v_fma_f64 v[120:121], v[66:67], s[6:7], -v[219:220]
	v_add_f64_e32 v[38:39], v[42:43], v[38:39]
	v_mul_f64_e32 v[155:156], s[6:7], v[80:81]
	v_add_f64_e32 v[165:166], v[245:246], v[235:236]
	v_mul_f64_e32 v[233:234], s[34:35], v[177:178]
	v_mul_f64_e32 v[179:180], s[6:7], v[179:180]
	v_add_f64_e32 v[22:23], v[26:27], v[22:23]
	v_fma_f64 v[26:27], v[62:63], s[42:43], v[201:202]
	v_add_f64_e32 v[44:45], v[223:224], v[44:45]
	v_mul_f64_e32 v[223:224], s[30:31], v[146:147]
	v_mul_f64_e32 v[146:147], s[44:45], v[146:147]
	v_add_f64_e32 v[20:21], v[24:25], v[20:21]
	v_fma_f64 v[24:25], v[62:63], s[10:11], v[201:202]
	v_add_f64_e32 v[28:29], v[28:29], v[239:240]
	v_add_f64_e32 v[46:47], v[229:230], v[46:47]
	v_mul_f64_e32 v[239:240], s[20:21], v[177:178]
	v_add_f64_e32 v[48:49], v[60:61], v[48:49]
	v_add_f64_e32 v[60:61], v[98:99], v[96:97]
	v_fma_f64 v[98:99], v[62:63], s[34:35], v[150:151]
	v_add_f64_e32 v[96:97], v[181:182], v[243:244]
	v_add_f64_e32 v[64:65], v[64:65], v[94:95]
	;; [unrolled: 1-line block ×3, first 2 shown]
	v_fma_f64 v[62:63], v[62:63], s[14:15], v[150:151]
	v_fma_f64 v[150:151], v[66:67], s[16:17], -v[195:196]
	v_fma_f64 v[66:67], v[66:67], s[28:29], -v[82:83]
	v_add_f64_e32 v[82:83], v[189:190], v[191:192]
	v_add_f64_e32 v[36:37], v[217:218], v[36:37]
	;; [unrolled: 1-line block ×5, first 2 shown]
	v_fma_f64 v[116:117], v[72:73], s[30:31], v[237:238]
	v_add_f64_e32 v[16:17], v[106:107], v[16:17]
	v_add_f64_e32 v[142:143], v[144:145], v[215:216]
	;; [unrolled: 1-line block ×3, first 2 shown]
	v_mul_f64_e32 v[177:178], s[42:43], v[177:178]
	v_add_f64_e64 v[140:141], v[155:156], -v[140:141]
	v_add_f64_e32 v[14:15], v[22:23], v[14:15]
	v_fma_f64 v[22:23], v[80:81], s[22:23], v[247:248]
	v_add_f64_e32 v[30:31], v[30:31], v[44:45]
	v_fma_f64 v[106:107], v[80:81], s[18:19], v[223:224]
	v_fma_f64 v[144:145], v[80:81], s[28:29], v[146:147]
	v_add_f64_e32 v[12:13], v[20:21], v[12:13]
	v_fma_f64 v[20:21], v[72:73], s[24:25], v[205:206]
	v_add_f64_e32 v[28:29], v[159:160], v[28:29]
	v_add_f64_e32 v[46:47], v[227:228], v[46:47]
	v_fma_f64 v[84:85], v[90:91], s[22:23], -v[239:240]
	v_add_f64_e32 v[44:45], v[102:103], v[48:49]
	v_add_f64_e32 v[48:49], v[153:154], v[60:61]
	;; [unrolled: 1-line block ×6, first 2 shown]
	v_fma_f64 v[94:95], v[72:73], s[20:21], v[205:206]
	v_fma_f64 v[96:97], v[80:81], s[22:23], -v[247:248]
	v_fma_f64 v[102:103], v[72:73], s[4:5], v[237:238]
	v_fma_f64 v[122:123], v[80:81], s[18:19], -v[223:224]
	v_fma_f64 v[132:133], v[72:73], s[26:27], v[161:162]
	v_fma_f64 v[72:73], v[72:73], s[44:45], v[161:162]
	v_fma_f64 v[80:81], v[80:81], s[28:29], -v[146:147]
	v_add_f64_e32 v[24:25], v[24:25], v[82:83]
	v_add_f64_e32 v[26:27], v[26:27], v[36:37]
	v_add_f64_e32 v[36:37], v[120:121], v[38:39]
	v_add_f64_e32 v[38:39], v[74:75], v[42:43]
	v_add_f64_e32 v[32:33], v[32:33], v[50:51]
	v_add_f64_e32 v[18:19], v[110:111], v[18:19]
	v_fma_f64 v[74:75], v[78:79], s[24:25], v[40:41]
	v_fma_f64 v[40:41], v[78:79], s[20:21], v[40:41]
	v_add_f64_e32 v[82:83], v[118:119], v[165:166]
	v_add_f64_e32 v[34:35], v[140:141], v[34:35]
	v_fma_f64 v[110:111], v[90:91], s[6:7], v[177:178]
	v_add_f64_e32 v[10:11], v[14:15], v[10:11]
	v_fma_f64 v[14:15], v[78:79], s[14:15], v[207:208]
	;; [unrolled: 2-line block ×3, first 2 shown]
	v_add_f64_e32 v[8:9], v[12:13], v[8:9]
	v_add_f64_e32 v[12:13], v[104:105], v[16:17]
	;; [unrolled: 1-line block ×11, first 2 shown]
	v_fma_f64 v[64:65], v[78:79], s[34:35], v[207:208]
	v_fma_f64 v[66:67], v[90:91], s[16:17], -v[233:234]
	v_add_f64_e32 v[88:89], v[130:131], v[209:210]
	v_add_f64_e64 v[98:99], v[193:194], -v[124:125]
	v_fma_f64 v[16:17], v[90:91], s[16:17], v[233:234]
	v_fma_f64 v[86:87], v[78:79], s[10:11], v[179:180]
	;; [unrolled: 1-line block ×3, first 2 shown]
	v_add_f64_e32 v[20:21], v[20:21], v[24:25]
	v_add_f64_e32 v[24:25], v[94:95], v[26:27]
	;; [unrolled: 1-line block ×5, first 2 shown]
	v_fma_f64 v[90:91], v[90:91], s[6:7], -v[177:178]
	v_add_f64_e32 v[22:23], v[22:23], v[82:83]
	v_add_f64_e32 v[30:31], v[116:117], v[30:31]
	;; [unrolled: 1-line block ×21, first 2 shown]
	scratch_load_b32 v40, off, off offset:12 ; 4-byte Folded Reload
	v_add_f64_e32 v[30:31], v[104:105], v[32:33]
	v_add_f64_e32 v[36:37], v[92:93], v[82:83]
	;; [unrolled: 1-line block ×13, first 2 shown]
	s_wait_loadcnt 0x0
	v_and_b32_e32 v40, 0xffff, v40
	s_delay_alu instid0(VALU_DEP_1)
	v_lshlrev_b32_e32 v40, 4, v40
	ds_store_b128 v40, v[68:71] offset:160
	ds_store_b128 v40, v[52:55] offset:176
	;; [unrolled: 1-line block ×10, first 2 shown]
	ds_store_b128 v40, v[0:3]
	ds_store_b128 v40, v[36:39] offset:16
	ds_store_b128 v40, v[56:59] offset:192
.LBB0_7:
	s_or_b32 exec_lo, exec_lo, s33
	scratch_load_b32 v1, off, off           ; 4-byte Folded Reload
	s_load_b128 s[4:7], s[2:3], 0x0
	global_wb scope:SCOPE_SE
	s_wait_loadcnt_dscnt 0x0
	s_wait_kmcnt 0x0
	s_barrier_signal -1
	s_barrier_wait -1
	global_inv scope:SCOPE_SE
	s_mov_b32 s10, 0x134454ff
	s_mov_b32 s11, 0x3fee6f0e
	s_mov_b32 s3, 0xbfee6f0e
	s_wait_alu 0xfffe
	s_mov_b32 s2, s10
	s_mov_b32 s16, 0x4755a5e
	;; [unrolled: 1-line block ×4, first 2 shown]
	s_wait_alu 0xfffe
	s_mov_b32 s14, s16
	s_mov_b32 s18, 0x372fe950
	;; [unrolled: 1-line block ×5, first 2 shown]
	v_and_b32_e32 v0, 0xff, v1
	s_delay_alu instid0(VALU_DEP_1) | instskip(NEXT) | instid1(VALU_DEP_1)
	v_mul_lo_u16 v0, 0x4f, v0
	v_lshrrev_b16 v24, 10, v0
	s_delay_alu instid0(VALU_DEP_1) | instskip(SKIP_1) | instid1(VALU_DEP_2)
	v_mul_lo_u16 v0, v24, 13
	v_and_b32_e32 v24, 0xffff, v24
	v_sub_nc_u16 v0, v1, v0
	s_delay_alu instid0(VALU_DEP_2) | instskip(NEXT) | instid1(VALU_DEP_2)
	v_mul_u32_u24_e32 v24, 0x82, v24
	v_and_b32_e32 v25, 0xff, v0
	s_delay_alu instid0(VALU_DEP_1)
	v_mad_co_u64_u32 v[4:5], null, 0x90, v25, s[0:1]
	s_clause 0x8
	global_load_b128 v[20:23], v[4:5], off offset:32
	global_load_b128 v[32:35], v[4:5], off offset:64
	;; [unrolled: 1-line block ×4, first 2 shown]
	global_load_b128 v[0:3], v[4:5], off
	global_load_b128 v[16:19], v[4:5], off offset:16
	global_load_b128 v[12:15], v[4:5], off offset:48
	;; [unrolled: 1-line block ×4, first 2 shown]
	ds_load_b128 v[40:43], v255 offset:8112
	ds_load_b128 v[44:47], v255 offset:13520
	;; [unrolled: 1-line block ×6, first 2 shown]
	s_wait_loadcnt_dscnt 0x805
	v_mul_f64_e32 v[26:27], v[42:43], v[22:23]
	v_mul_f64_e32 v[76:77], v[40:41], v[22:23]
	s_wait_loadcnt_dscnt 0x704
	v_mul_f64_e32 v[78:79], v[46:47], v[34:35]
	v_mul_f64_e32 v[80:81], v[44:45], v[34:35]
	s_wait_loadcnt_dscnt 0x603
	v_mul_f64_e32 v[82:83], v[48:49], v[30:31]
	s_wait_loadcnt_dscnt 0x502
	v_mul_f64_e32 v[84:85], v[60:61], v[38:39]
	v_mul_f64_e32 v[86:87], v[62:63], v[38:39]
	v_mul_f64_e32 v[88:89], v[50:51], v[30:31]
	s_wait_loadcnt_dscnt 0x401
	v_mul_f64_e32 v[90:91], v[66:67], v[2:3]
	v_mul_f64_e32 v[92:93], v[64:65], v[2:3]
	v_fma_f64 v[26:27], v[40:41], v[20:21], -v[26:27]
	v_fma_f64 v[76:77], v[42:43], v[20:21], v[76:77]
	v_fma_f64 v[78:79], v[44:45], v[32:33], -v[78:79]
	v_fma_f64 v[80:81], v[46:47], v[32:33], v[80:81]
	v_fma_f64 v[82:83], v[50:51], v[28:29], v[82:83]
	;; [unrolled: 1-line block ×3, first 2 shown]
	v_fma_f64 v[60:61], v[60:61], v[36:37], -v[86:87]
	v_fma_f64 v[84:85], v[48:49], v[28:29], -v[88:89]
	ds_load_b128 v[40:43], v255 offset:10816
	ds_load_b128 v[44:47], v255 offset:16224
	;; [unrolled: 1-line block ×3, first 2 shown]
	s_wait_loadcnt_dscnt 0x303
	v_mul_f64_e32 v[86:87], v[74:75], v[18:19]
	v_mul_f64_e32 v[88:89], v[72:73], v[18:19]
	v_fma_f64 v[64:65], v[64:65], v[0:1], -v[90:91]
	v_fma_f64 v[66:67], v[66:67], v[0:1], v[92:93]
	s_wait_loadcnt_dscnt 0x202
	v_mul_f64_e32 v[94:95], v[42:43], v[14:15]
	v_mul_f64_e32 v[96:97], v[40:41], v[14:15]
	s_wait_loadcnt_dscnt 0x101
	v_mul_f64_e32 v[98:99], v[46:47], v[10:11]
	s_wait_loadcnt_dscnt 0x0
	v_mul_f64_e32 v[100:101], v[50:51], v[6:7]
	v_mul_f64_e32 v[102:103], v[44:45], v[10:11]
	;; [unrolled: 1-line block ×3, first 2 shown]
	v_add_f64_e64 v[114:115], v[26:27], -v[78:79]
	v_add_f64_e64 v[118:119], v[78:79], -v[26:27]
	v_add_f64_e32 v[90:91], v[80:81], v[82:83]
	v_add_f64_e32 v[92:93], v[76:77], v[62:63]
	;; [unrolled: 1-line block ×4, first 2 shown]
	v_add_f64_e64 v[116:117], v[60:61], -v[84:85]
	v_fma_f64 v[72:73], v[72:73], v[16:17], -v[86:87]
	v_fma_f64 v[74:75], v[74:75], v[16:17], v[88:89]
	v_add_f64_e64 v[120:121], v[84:85], -v[60:61]
	v_add_f64_e64 v[122:123], v[76:77], -v[80:81]
	;; [unrolled: 1-line block ×5, first 2 shown]
	v_fma_f64 v[86:87], v[40:41], v[12:13], -v[94:95]
	v_fma_f64 v[88:89], v[42:43], v[12:13], v[96:97]
	v_fma_f64 v[44:45], v[44:45], v[8:9], -v[98:99]
	v_fma_f64 v[48:49], v[48:49], v[4:5], -v[100:101]
	v_fma_f64 v[46:47], v[46:47], v[8:9], v[102:103]
	v_fma_f64 v[50:51], v[50:51], v[4:5], v[104:105]
	v_add_f64_e64 v[94:95], v[76:77], -v[62:63]
	v_add_f64_e64 v[96:97], v[80:81], -v[82:83]
	;; [unrolled: 1-line block ×4, first 2 shown]
	ds_load_b128 v[40:43], v255
	v_add_f64_e32 v[26:27], v[64:65], v[26:27]
	global_wb scope:SCOPE_SE
	s_wait_dscnt 0x0
	s_barrier_signal -1
	s_barrier_wait -1
	global_inv scope:SCOPE_SE
	v_fma_f64 v[90:91], v[90:91], -0.5, v[66:67]
	v_fma_f64 v[92:93], v[92:93], -0.5, v[66:67]
	;; [unrolled: 1-line block ×4, first 2 shown]
	v_add_f64_e32 v[64:65], v[66:67], v[76:77]
	v_add_f64_e32 v[138:139], v[40:41], v[72:73]
	;; [unrolled: 1-line block ×7, first 2 shown]
	v_add_f64_e64 v[140:141], v[74:75], -v[50:51]
	v_add_f64_e64 v[142:143], v[88:89], -v[46:47]
	;; [unrolled: 1-line block ×4, first 2 shown]
	v_add_f64_e32 v[26:27], v[26:27], v[78:79]
	v_fma_f64 v[130:131], v[98:99], s[2:3], v[90:91]
	v_fma_f64 v[132:133], v[100:101], s[10:11], v[92:93]
	v_fma_f64 v[134:135], v[96:97], s[10:11], v[102:103]
	v_fma_f64 v[136:137], v[94:95], s[2:3], v[104:105]
	v_fma_f64 v[104:105], v[94:95], s[10:11], v[104:105]
	v_fma_f64 v[102:103], v[96:97], s[2:3], v[102:103]
	v_fma_f64 v[92:93], v[100:101], s[2:3], v[92:93]
	v_fma_f64 v[90:91], v[98:99], s[10:11], v[90:91]
	v_add_f64_e32 v[64:65], v[64:65], v[80:81]
	v_fma_f64 v[66:67], v[106:107], -0.5, v[40:41]
	v_fma_f64 v[40:41], v[108:109], -0.5, v[40:41]
	;; [unrolled: 1-line block ×4, first 2 shown]
	v_add_f64_e32 v[106:107], v[114:115], v[116:117]
	v_add_f64_e32 v[108:109], v[118:119], v[120:121]
	;; [unrolled: 1-line block ×4, first 2 shown]
	v_add_f64_e64 v[122:123], v[50:51], -v[46:47]
	v_add_f64_e64 v[124:125], v[46:47], -v[50:51]
	v_add_f64_e32 v[26:27], v[26:27], v[84:85]
	s_wait_alu 0xfffe
	v_fma_f64 v[114:115], v[100:101], s[14:15], v[130:131]
	v_fma_f64 v[116:117], v[98:99], s[14:15], v[132:133]
	;; [unrolled: 1-line block ×8, first 2 shown]
	v_add_f64_e64 v[98:99], v[72:73], -v[86:87]
	v_add_f64_e64 v[100:101], v[48:49], -v[44:45]
	;; [unrolled: 1-line block ×6, first 2 shown]
	v_add_f64_e32 v[86:87], v[138:139], v[86:87]
	v_add_f64_e32 v[88:89], v[144:145], v[88:89]
	v_add_f64_e32 v[64:65], v[64:65], v[82:83]
	v_fma_f64 v[78:79], v[140:141], s[10:11], v[66:67]
	v_fma_f64 v[66:67], v[140:141], s[2:3], v[66:67]
	v_fma_f64 v[80:81], v[142:143], s[2:3], v[40:41]
	v_fma_f64 v[40:41], v[142:143], s[10:11], v[40:41]
	v_fma_f64 v[126:127], v[146:147], s[2:3], v[76:77]
	v_fma_f64 v[76:77], v[146:147], s[10:11], v[76:77]
	v_fma_f64 v[128:129], v[148:149], s[10:11], v[42:43]
	v_fma_f64 v[42:43], v[148:149], s[2:3], v[42:43]
	v_add_f64_e32 v[26:27], v[26:27], v[60:61]
	v_fma_f64 v[114:115], v[110:111], s[18:19], v[114:115]
	v_fma_f64 v[116:117], v[112:113], s[18:19], v[116:117]
	v_fma_f64 v[118:119], v[108:109], s[18:19], v[118:119]
	v_fma_f64 v[120:121], v[106:107], s[18:19], v[120:121]
	v_fma_f64 v[96:97], v[106:107], s[18:19], v[96:97]
	v_fma_f64 v[94:95], v[108:109], s[18:19], v[94:95]
	v_fma_f64 v[92:93], v[112:113], s[18:19], v[92:93]
	v_fma_f64 v[90:91], v[110:111], s[18:19], v[90:91]
	v_add_f64_e32 v[98:99], v[98:99], v[100:101]
	v_add_f64_e32 v[72:73], v[72:73], v[102:103]
	;; [unrolled: 1-line block ×6, first 2 shown]
	v_fma_f64 v[78:79], v[142:143], s[16:17], v[78:79]
	v_fma_f64 v[66:67], v[142:143], s[14:15], v[66:67]
	;; [unrolled: 1-line block ×8, first 2 shown]
	v_add_lshl_u32 v148, v24, v25, 4
	v_mul_f64_e32 v[86:87], s[16:17], v[114:115]
	v_mul_f64_e32 v[88:89], s[10:11], v[116:117]
	v_mul_f64_e32 v[102:103], s[18:19], v[118:119]
	v_mul_f64_e32 v[104:105], s[20:21], v[120:121]
	v_mul_f64_e32 v[106:107], s[14:15], v[96:97]
	v_mul_f64_e32 v[108:109], s[2:3], v[94:95]
	v_mul_f64_e32 v[110:111], s[18:19], v[92:93]
	v_mul_f64_e32 v[112:113], s[20:21], v[90:91]
	v_add_f64_e32 v[44:45], v[44:45], v[48:49]
	v_add_f64_e32 v[46:47], v[46:47], v[50:51]
	;; [unrolled: 1-line block ×3, first 2 shown]
	v_fma_f64 v[50:51], v[98:99], s[18:19], v[78:79]
	v_fma_f64 v[78:79], v[98:99], s[18:19], v[66:67]
	;; [unrolled: 1-line block ×10, first 2 shown]
	v_fma_f64 v[100:101], v[92:93], s[10:11], -v[102:103]
	v_fma_f64 v[90:91], v[90:91], s[16:17], -v[104:105]
	v_fma_f64 v[102:103], v[114:115], s[20:21], v[106:107]
	v_fma_f64 v[104:105], v[116:117], s[18:19], v[108:109]
	v_fma_f64 v[106:107], v[118:119], s[2:3], -v[110:111]
	v_fma_f64 v[108:109], v[120:121], s[14:15], -v[112:113]
	v_add_f64_e32 v[84:85], v[44:45], v[26:27]
	v_add_f64_e64 v[80:81], v[44:45], -v[26:27]
	v_add_f64_e32 v[86:87], v[46:47], v[48:49]
	v_add_f64_e64 v[82:83], v[46:47], -v[48:49]
	v_add_f64_e32 v[44:45], v[50:51], v[96:97]
	v_add_f64_e32 v[64:65], v[98:99], v[94:95]
	;; [unrolled: 1-line block ×8, first 2 shown]
	v_add_f64_e64 v[88:89], v[50:51], -v[96:97]
	v_add_f64_e64 v[92:93], v[98:99], -v[94:95]
	;; [unrolled: 1-line block ×8, first 2 shown]
	ds_store_b128 v148, v[84:87]
	ds_store_b128 v148, v[44:47] offset:208
	ds_store_b128 v148, v[64:67] offset:416
	ds_store_b128 v148, v[60:63] offset:624
	ds_store_b128 v148, v[72:75] offset:832
	ds_store_b128 v148, v[80:83] offset:1040
	ds_store_b128 v148, v[88:91] offset:1248
	ds_store_b128 v148, v[92:95] offset:1456
	ds_store_b128 v148, v[96:99] offset:1664
	ds_store_b128 v148, v[100:103] offset:1872
	global_wb scope:SCOPE_SE
	s_wait_dscnt 0x0
	s_barrier_signal -1
	s_barrier_wait -1
	global_inv scope:SCOPE_SE
	s_and_saveexec_b32 s2, vcc_lo
	s_cbranch_execz .LBB0_9
; %bb.8:
	ds_load_b128 v[84:87], v255
	ds_load_b128 v[44:47], v255 offset:2080
	ds_load_b128 v[64:67], v255 offset:4160
	;; [unrolled: 1-line block ×12, first 2 shown]
.LBB0_9:
	s_wait_alu 0xfffe
	s_or_b32 exec_lo, exec_lo, s2
	scratch_load_b32 v25, off, off          ; 4-byte Folded Reload
	s_mov_b32 s26, 0x42a4c3d2
	s_mov_b32 s28, 0x66966769
	;; [unrolled: 1-line block ×23, first 2 shown]
	s_wait_alu 0xfffe
	s_mov_b32 s36, s22
	s_mov_b32 s34, s28
	s_mov_b32 s39, 0x3fedeba7
	s_mov_b32 s38, s18
	s_wait_loadcnt 0x0
	v_add_nc_u32_e32 v24, 0xffffff7e, v25
	s_delay_alu instid0(VALU_DEP_1) | instskip(NEXT) | instid1(VALU_DEP_1)
	v_cndmask_b32_e32 v24, v24, v25, vcc_lo
	v_mul_i32_i24_e32 v25, 0xc0, v24
	v_mul_hi_i32_i24_e32 v24, 0xc0, v24
	s_delay_alu instid0(VALU_DEP_2) | instskip(SKIP_1) | instid1(VALU_DEP_2)
	v_add_co_u32 v104, s0, s0, v25
	s_wait_alu 0xf1ff
	v_add_co_ci_u32_e64 v105, s0, s1, v24, s0
	s_mov_b32 s0, 0xebaa3ed8
	s_mov_b32 s1, 0x3fbedb7d
	s_clause 0x1
	global_load_b128 v[24:27], v[104:105], off offset:1872
	global_load_b128 v[40:43], v[104:105], off offset:1888
	s_wait_loadcnt_dscnt 0x10b
	v_mul_f64_e32 v[48:49], v[46:47], v[26:27]
	s_delay_alu instid0(VALU_DEP_1) | instskip(SKIP_1) | instid1(VALU_DEP_2)
	v_fma_f64 v[106:107], v[44:45], v[24:25], -v[48:49]
	v_mul_f64_e32 v[44:45], v[44:45], v[26:27]
	v_add_f64_e32 v[173:174], v[84:85], v[106:107]
	s_delay_alu instid0(VALU_DEP_2)
	v_fma_f64 v[108:109], v[46:47], v[24:25], v[44:45]
	s_clause 0x1
	global_load_b128 v[44:47], v[104:105], off offset:2048
	global_load_b128 v[48:51], v[104:105], off offset:2032
	v_add_f64_e32 v[175:176], v[86:87], v[108:109]
	s_wait_loadcnt_dscnt 0x100
	v_mul_f64_e32 v[76:77], v[56:57], v[46:47]
	s_delay_alu instid0(VALU_DEP_1) | instskip(SKIP_1) | instid1(VALU_DEP_2)
	v_fma_f64 v[112:113], v[58:59], v[44:45], v[76:77]
	v_mul_f64_e32 v[58:59], v[58:59], v[46:47]
	v_add_f64_e32 v[142:143], v[108:109], v[112:113]
	s_delay_alu instid0(VALU_DEP_2) | instskip(SKIP_1) | instid1(VALU_DEP_1)
	v_fma_f64 v[114:115], v[56:57], v[44:45], -v[58:59]
	v_mul_f64_e32 v[56:57], v[66:67], v[42:43]
	v_fma_f64 v[128:129], v[64:65], v[40:41], -v[56:57]
	v_mul_f64_e32 v[56:57], v[64:65], v[42:43]
	s_delay_alu instid0(VALU_DEP_1) | instskip(SKIP_2) | instid1(VALU_DEP_1)
	v_fma_f64 v[130:131], v[66:67], v[40:41], v[56:57]
	s_wait_loadcnt 0x0
	v_mul_f64_e32 v[56:57], v[52:53], v[50:51]
	v_fma_f64 v[116:117], v[54:55], v[48:49], v[56:57]
	v_mul_f64_e32 v[54:55], v[54:55], v[50:51]
	s_delay_alu instid0(VALU_DEP_1)
	v_fma_f64 v[118:119], v[52:53], v[48:49], -v[54:55]
	s_clause 0x1
	global_load_b128 v[52:55], v[104:105], off offset:1904
	global_load_b128 v[56:59], v[104:105], off offset:1920
	s_wait_loadcnt 0x1
	v_mul_f64_e32 v[64:65], v[62:63], v[54:55]
	s_delay_alu instid0(VALU_DEP_1) | instskip(SKIP_1) | instid1(VALU_DEP_1)
	v_fma_f64 v[144:145], v[60:61], v[52:53], -v[64:65]
	v_mul_f64_e32 v[60:61], v[60:61], v[54:55]
	v_fma_f64 v[146:147], v[62:63], v[52:53], v[60:61]
	s_clause 0x1
	global_load_b128 v[60:63], v[104:105], off offset:2016
	global_load_b128 v[64:67], v[104:105], off offset:2000
	s_wait_loadcnt 0x1
	v_mul_f64_e32 v[76:77], v[68:69], v[62:63]
	s_delay_alu instid0(VALU_DEP_1) | instskip(SKIP_1) | instid1(VALU_DEP_2)
	v_fma_f64 v[149:150], v[70:71], v[60:61], v[76:77]
	v_mul_f64_e32 v[70:71], v[70:71], v[62:63]
	v_add_f64_e32 v[203:204], v[146:147], v[149:150]
	s_delay_alu instid0(VALU_DEP_2) | instskip(SKIP_1) | instid1(VALU_DEP_1)
	v_fma_f64 v[151:152], v[68:69], v[60:61], -v[70:71]
	v_mul_f64_e32 v[68:69], v[74:75], v[58:59]
	v_fma_f64 v[153:154], v[72:73], v[56:57], -v[68:69]
	v_mul_f64_e32 v[68:69], v[72:73], v[58:59]
	s_delay_alu instid0(VALU_DEP_1)
	v_fma_f64 v[155:156], v[74:75], v[56:57], v[68:69]
	s_clause 0x1
	global_load_b128 v[72:75], v[104:105], off offset:1936
	global_load_b128 v[76:79], v[104:105], off offset:1952
	s_wait_loadcnt 0x1
	v_mul_f64_e32 v[68:69], v[82:83], v[74:75]
	s_delay_alu instid0(VALU_DEP_1) | instskip(SKIP_1) | instid1(VALU_DEP_1)
	v_fma_f64 v[157:158], v[80:81], v[72:73], -v[68:69]
	v_mul_f64_e32 v[68:69], v[80:81], v[74:75]
	v_fma_f64 v[159:160], v[82:83], v[72:73], v[68:69]
	s_wait_loadcnt 0x0
	v_mul_f64_e32 v[68:69], v[90:91], v[78:79]
	s_delay_alu instid0(VALU_DEP_1) | instskip(SKIP_1) | instid1(VALU_DEP_1)
	v_fma_f64 v[161:162], v[88:89], v[76:77], -v[68:69]
	v_mul_f64_e32 v[68:69], v[88:89], v[78:79]
	v_fma_f64 v[163:164], v[90:91], v[76:77], v[68:69]
	s_clause 0x1
	global_load_b128 v[80:83], v[104:105], off offset:1968
	global_load_b128 v[68:71], v[104:105], off offset:1984
	v_add_f64_e32 v[104:105], v[106:107], v[114:115]
	s_wait_loadcnt 0x1
	v_mul_f64_e32 v[88:89], v[94:95], v[82:83]
	s_delay_alu instid0(VALU_DEP_1) | instskip(SKIP_1) | instid1(VALU_DEP_2)
	v_fma_f64 v[165:166], v[92:93], v[80:81], -v[88:89]
	v_mul_f64_e32 v[88:89], v[92:93], v[82:83]
	v_add_f64_e32 v[233:234], v[161:162], v[165:166]
	s_delay_alu instid0(VALU_DEP_2) | instskip(SKIP_3) | instid1(VALU_DEP_3)
	v_fma_f64 v[92:93], v[94:95], v[80:81], v[88:89]
	s_wait_loadcnt 0x0
	v_mul_f64_e32 v[88:89], v[98:99], v[70:71]
	v_add_f64_e64 v[237:238], v[161:162], -v[165:166]
	v_add_f64_e64 v[231:232], v[163:164], -v[92:93]
	s_delay_alu instid0(VALU_DEP_3) | instskip(SKIP_2) | instid1(VALU_DEP_4)
	v_fma_f64 v[94:95], v[96:97], v[68:69], -v[88:89]
	v_mul_f64_e32 v[88:89], v[96:97], v[70:71]
	v_add_f64_e32 v[239:240], v[163:164], v[92:93]
	v_mul_f64_e32 v[235:236], s[30:31], v[231:232]
	s_delay_alu instid0(VALU_DEP_4) | instskip(NEXT) | instid1(VALU_DEP_4)
	v_add_f64_e32 v[221:222], v[157:158], v[94:95]
	v_fma_f64 v[167:168], v[98:99], v[68:69], v[88:89]
	v_mul_f64_e32 v[88:89], v[102:103], v[66:67]
	v_add_f64_e64 v[225:226], v[157:158], -v[94:95]
	s_delay_alu instid0(VALU_DEP_3) | instskip(NEXT) | instid1(VALU_DEP_3)
	v_add_f64_e64 v[219:220], v[159:160], -v[167:168]
	v_fma_f64 v[169:170], v[100:101], v[64:65], -v[88:89]
	v_mul_f64_e32 v[88:89], v[100:101], v[66:67]
	v_add_f64_e32 v[227:228], v[159:160], v[167:168]
	v_mul_f64_e32 v[229:230], s[22:23], v[225:226]
	v_mul_f64_e32 v[223:224], s[22:23], v[219:220]
	v_add_f64_e32 v[209:210], v[153:154], v[169:170]
	v_fma_f64 v[171:172], v[102:103], v[64:65], v[88:89]
	v_add_f64_e64 v[88:89], v[108:109], -v[112:113]
	v_add_f64_e64 v[213:214], v[153:154], -v[169:170]
	s_delay_alu instid0(VALU_DEP_3) | instskip(NEXT) | instid1(VALU_DEP_3)
	v_add_f64_e64 v[207:208], v[155:156], -v[171:172]
	v_mul_f64_e32 v[90:91], s[20:21], v[88:89]
	v_mul_f64_e32 v[96:97], s[26:27], v[88:89]
	v_mul_f64_e32 v[98:99], s[28:29], v[88:89]
	v_mul_f64_e32 v[100:101], s[18:19], v[88:89]
	v_mul_f64_e32 v[102:103], s[22:23], v[88:89]
	v_mul_f64_e32 v[88:89], s[30:31], v[88:89]
	v_add_f64_e32 v[215:216], v[155:156], v[171:172]
	v_mul_f64_e32 v[217:218], s[18:19], v[213:214]
	v_mul_f64_e32 v[211:212], s[18:19], v[207:208]
	v_fma_f64 v[110:111], v[104:105], s[14:15], -v[90:91]
	v_fma_f64 v[120:121], v[104:105], s[2:3], -v[96:97]
	v_fma_f64 v[90:91], v[104:105], s[14:15], v[90:91]
	v_fma_f64 v[96:97], v[104:105], s[2:3], v[96:97]
	s_wait_alu 0xf1fe
	v_fma_f64 v[122:123], v[104:105], s[0:1], -v[98:99]
	v_fma_f64 v[140:141], v[104:105], s[24:25], -v[88:89]
	v_fma_f64 v[177:178], v[104:105], s[24:25], v[88:89]
	v_add_f64_e64 v[88:89], v[106:107], -v[114:115]
	v_fma_f64 v[98:99], v[104:105], s[0:1], v[98:99]
	v_fma_f64 v[124:125], v[104:105], s[10:11], -v[100:101]
	v_fma_f64 v[100:101], v[104:105], s[10:11], v[100:101]
	v_fma_f64 v[126:127], v[104:105], s[16:17], -v[102:103]
	v_fma_f64 v[102:103], v[104:105], s[16:17], v[102:103]
	v_add_f64_e32 v[108:109], v[84:85], v[110:111]
	v_add_f64_e32 v[199:200], v[84:85], v[120:121]
	;; [unrolled: 1-line block ×6, first 2 shown]
	v_mul_f64_e32 v[134:135], s[28:29], v[88:89]
	v_mul_f64_e32 v[132:133], s[26:27], v[88:89]
	;; [unrolled: 1-line block ×6, first 2 shown]
	v_add_f64_e32 v[98:99], v[84:85], v[98:99]
	v_add_f64_e32 v[106:107], v[84:85], v[100:101]
	s_mov_b32 s21, 0x3fddbe06
	v_fma_f64 v[183:184], v[142:143], s[0:1], v[134:135]
	v_fma_f64 v[181:182], v[142:143], s[2:3], v[132:133]
	v_fma_f64 v[134:135], v[142:143], s[0:1], -v[134:135]
	v_fma_f64 v[179:180], v[142:143], s[14:15], v[104:105]
	v_fma_f64 v[104:105], v[142:143], s[14:15], -v[104:105]
	v_fma_f64 v[132:133], v[142:143], s[2:3], -v[132:133]
	v_fma_f64 v[185:186], v[142:143], s[10:11], v[136:137]
	v_fma_f64 v[136:137], v[142:143], s[10:11], -v[136:137]
	v_fma_f64 v[187:188], v[142:143], s[16:17], v[138:139]
	;; [unrolled: 2-line block ×3, first 2 shown]
	v_fma_f64 v[193:194], v[142:143], s[24:25], -v[88:89]
	v_add_f64_e32 v[138:139], v[84:85], v[126:127]
	v_add_f64_e32 v[126:127], v[84:85], v[102:103]
	v_add_f64_e32 v[142:143], v[84:85], v[140:141]
	v_add_f64_e32 v[120:121], v[86:87], v[183:184]
	v_add_f64_e64 v[183:184], v[130:131], -v[116:117]
	v_add_f64_e32 v[201:202], v[86:87], v[181:182]
	v_add_f64_e32 v[96:97], v[86:87], v[134:135]
	;; [unrolled: 1-line block ×13, first 2 shown]
	v_add_f64_e64 v[189:190], v[128:129], -v[118:119]
	v_add_f64_e32 v[185:186], v[130:131], v[116:117]
	v_add_f64_e64 v[191:192], v[146:147], -v[149:150]
	v_add_f64_e32 v[187:188], v[144:145], v[151:152]
	;; [unrolled: 2-line block ×3, first 2 shown]
	v_add_f64_e32 v[130:131], v[175:176], v[130:131]
	v_mul_f64_e32 v[84:85], s[26:27], v[183:184]
	s_delay_alu instid0(VALU_DEP_4) | instskip(NEXT) | instid1(VALU_DEP_4)
	v_mul_f64_e32 v[205:206], s[28:29], v[193:194]
	v_add_f64_e32 v[128:129], v[128:129], v[144:145]
	s_delay_alu instid0(VALU_DEP_4) | instskip(NEXT) | instid1(VALU_DEP_4)
	v_add_f64_e32 v[130:131], v[130:131], v[146:147]
	v_fma_f64 v[86:87], v[181:182], s[2:3], -v[84:85]
	v_fma_f64 v[84:85], v[181:182], s[2:3], v[84:85]
	s_delay_alu instid0(VALU_DEP_4) | instskip(NEXT) | instid1(VALU_DEP_4)
	v_add_f64_e32 v[128:129], v[128:129], v[153:154]
	v_add_f64_e32 v[130:131], v[130:131], v[155:156]
	s_delay_alu instid0(VALU_DEP_4)
	v_add_f64_e32 v[86:87], v[86:87], v[108:109]
	v_mul_f64_e32 v[108:109], s[26:27], v[189:190]
	v_add_f64_e32 v[84:85], v[84:85], v[195:196]
	v_mul_f64_e32 v[195:196], s[18:19], v[183:184]
	v_add_f64_e32 v[128:129], v[128:129], v[157:158]
	v_add_f64_e32 v[130:131], v[130:131], v[159:160]
	v_fma_f64 v[100:101], v[185:186], s[2:3], v[108:109]
	v_fma_f64 v[108:109], v[185:186], s[2:3], -v[108:109]
	s_delay_alu instid0(VALU_DEP_4) | instskip(NEXT) | instid1(VALU_DEP_4)
	v_add_f64_e32 v[128:129], v[128:129], v[161:162]
	v_add_f64_e32 v[130:131], v[130:131], v[163:164]
	s_delay_alu instid0(VALU_DEP_4)
	v_add_f64_e32 v[100:101], v[100:101], v[110:111]
	v_mul_f64_e32 v[110:111], s[28:29], v[191:192]
	v_add_f64_e32 v[108:109], v[108:109], v[197:198]
	v_mul_f64_e32 v[197:198], s[18:19], v[189:190]
	v_add_f64_e32 v[128:129], v[128:129], v[165:166]
	v_add_f64_e32 v[92:93], v[130:131], v[92:93]
	v_fma_f64 v[102:103], v[187:188], s[0:1], -v[110:111]
	v_fma_f64 v[110:111], v[187:188], s[0:1], v[110:111]
	s_delay_alu instid0(VALU_DEP_4) | instskip(NEXT) | instid1(VALU_DEP_4)
	v_add_f64_e32 v[94:95], v[128:129], v[94:95]
	v_add_f64_e32 v[92:93], v[92:93], v[167:168]
	s_delay_alu instid0(VALU_DEP_4)
	v_add_f64_e32 v[86:87], v[102:103], v[86:87]
	v_fma_f64 v[102:103], v[203:204], s[0:1], v[205:206]
	v_add_f64_e32 v[84:85], v[110:111], v[84:85]
	v_fma_f64 v[110:111], v[203:204], s[0:1], -v[205:206]
	v_add_f64_e32 v[94:95], v[94:95], v[169:170]
	v_add_f64_e32 v[92:93], v[92:93], v[171:172]
	;; [unrolled: 1-line block ×3, first 2 shown]
	v_fma_f64 v[102:103], v[209:210], s[10:11], -v[211:212]
	v_add_f64_e32 v[108:109], v[110:111], v[108:109]
	v_fma_f64 v[110:111], v[209:210], s[10:11], v[211:212]
	v_add_f64_e32 v[94:95], v[94:95], v[151:152]
	v_add_f64_e32 v[92:93], v[92:93], v[149:150]
	;; [unrolled: 1-line block ×3, first 2 shown]
	v_fma_f64 v[102:103], v[215:216], s[10:11], v[217:218]
	v_add_f64_e32 v[84:85], v[110:111], v[84:85]
	v_fma_f64 v[110:111], v[215:216], s[10:11], -v[217:218]
	v_add_f64_e32 v[94:95], v[94:95], v[118:119]
	v_add_f64_e32 v[116:117], v[92:93], v[116:117]
	;; [unrolled: 1-line block ×3, first 2 shown]
	v_fma_f64 v[102:103], v[221:222], s[16:17], -v[223:224]
	v_add_f64_e32 v[108:109], v[110:111], v[108:109]
	v_fma_f64 v[110:111], v[221:222], s[16:17], v[223:224]
	v_add_f64_e32 v[92:93], v[94:95], v[114:115]
	v_add_f64_e32 v[94:95], v[116:117], v[112:113]
	;; [unrolled: 1-line block ×3, first 2 shown]
	v_fma_f64 v[102:103], v[227:228], s[16:17], v[229:230]
	v_add_f64_e32 v[84:85], v[110:111], v[84:85]
	v_fma_f64 v[110:111], v[227:228], s[16:17], -v[229:230]
	s_delay_alu instid0(VALU_DEP_3) | instskip(SKIP_1) | instid1(VALU_DEP_3)
	v_add_f64_e32 v[102:103], v[102:103], v[100:101]
	v_fma_f64 v[100:101], v[233:234], s[24:25], -v[235:236]
	v_add_f64_e32 v[108:109], v[110:111], v[108:109]
	v_fma_f64 v[110:111], v[233:234], s[24:25], v[235:236]
	s_delay_alu instid0(VALU_DEP_3) | instskip(SKIP_1) | instid1(VALU_DEP_3)
	v_add_f64_e32 v[100:101], v[100:101], v[86:87]
	v_mul_f64_e32 v[86:87], s[30:31], v[237:238]
	v_add_f64_e32 v[84:85], v[110:111], v[84:85]
	v_fma_f64 v[110:111], v[185:186], s[10:11], v[197:198]
	s_delay_alu instid0(VALU_DEP_3) | instskip(SKIP_1) | instid1(VALU_DEP_3)
	v_fma_f64 v[241:242], v[239:240], s[24:25], v[86:87]
	v_fma_f64 v[86:87], v[239:240], s[24:25], -v[86:87]
	v_add_f64_e32 v[110:111], v[110:111], v[201:202]
	s_delay_alu instid0(VALU_DEP_3) | instskip(NEXT) | instid1(VALU_DEP_3)
	v_add_f64_e32 v[102:103], v[241:242], v[102:103]
	v_add_f64_e32 v[86:87], v[86:87], v[108:109]
	v_fma_f64 v[108:109], v[181:182], s[10:11], -v[195:196]
	v_fma_f64 v[195:196], v[181:182], s[10:11], v[195:196]
	s_delay_alu instid0(VALU_DEP_2) | instskip(SKIP_1) | instid1(VALU_DEP_3)
	v_add_f64_e32 v[108:109], v[108:109], v[199:200]
	v_mul_f64_e32 v[199:200], s[30:31], v[191:192]
	v_add_f64_e32 v[90:91], v[195:196], v[90:91]
	v_fma_f64 v[195:196], v[185:186], s[10:11], -v[197:198]
	s_delay_alu instid0(VALU_DEP_3) | instskip(NEXT) | instid1(VALU_DEP_2)
	v_fma_f64 v[201:202], v[187:188], s[24:25], -v[199:200]
	v_add_f64_e32 v[88:89], v[195:196], v[88:89]
	v_fma_f64 v[195:196], v[187:188], s[24:25], v[199:200]
	s_delay_alu instid0(VALU_DEP_3) | instskip(SKIP_1) | instid1(VALU_DEP_3)
	v_add_f64_e32 v[108:109], v[201:202], v[108:109]
	v_mul_f64_e32 v[201:202], s[30:31], v[193:194]
	v_add_f64_e32 v[90:91], v[195:196], v[90:91]
	s_delay_alu instid0(VALU_DEP_2) | instskip(SKIP_1) | instid1(VALU_DEP_2)
	v_fma_f64 v[205:206], v[203:204], s[24:25], v[201:202]
	v_fma_f64 v[195:196], v[203:204], s[24:25], -v[201:202]
	v_add_f64_e32 v[110:111], v[205:206], v[110:111]
	v_mul_f64_e32 v[205:206], s[36:37], v[207:208]
	s_delay_alu instid0(VALU_DEP_3) | instskip(NEXT) | instid1(VALU_DEP_2)
	v_add_f64_e32 v[88:89], v[195:196], v[88:89]
	v_fma_f64 v[211:212], v[209:210], s[16:17], -v[205:206]
	v_fma_f64 v[195:196], v[209:210], s[16:17], v[205:206]
	s_delay_alu instid0(VALU_DEP_2) | instskip(SKIP_1) | instid1(VALU_DEP_3)
	v_add_f64_e32 v[108:109], v[211:212], v[108:109]
	v_mul_f64_e32 v[211:212], s[36:37], v[213:214]
	v_add_f64_e32 v[90:91], v[195:196], v[90:91]
	s_delay_alu instid0(VALU_DEP_2) | instskip(SKIP_1) | instid1(VALU_DEP_2)
	v_fma_f64 v[217:218], v[215:216], s[16:17], v[211:212]
	v_fma_f64 v[195:196], v[215:216], s[16:17], -v[211:212]
	v_add_f64_e32 v[110:111], v[217:218], v[110:111]
	v_mul_f64_e32 v[217:218], s[34:35], v[219:220]
	s_delay_alu instid0(VALU_DEP_3) | instskip(NEXT) | instid1(VALU_DEP_2)
	v_add_f64_e32 v[88:89], v[195:196], v[88:89]
	v_fma_f64 v[223:224], v[221:222], s[0:1], -v[217:218]
	v_fma_f64 v[195:196], v[221:222], s[0:1], v[217:218]
	s_delay_alu instid0(VALU_DEP_2) | instskip(SKIP_1) | instid1(VALU_DEP_3)
	v_add_f64_e32 v[108:109], v[223:224], v[108:109]
	v_mul_f64_e32 v[223:224], s[34:35], v[225:226]
	v_add_f64_e32 v[90:91], v[195:196], v[90:91]
	s_delay_alu instid0(VALU_DEP_2) | instskip(SKIP_1) | instid1(VALU_DEP_2)
	v_fma_f64 v[229:230], v[227:228], s[0:1], v[223:224]
	v_fma_f64 v[195:196], v[227:228], s[0:1], -v[223:224]
	v_add_f64_e32 v[110:111], v[229:230], v[110:111]
	s_wait_alu 0xfffe
	v_mul_f64_e32 v[229:230], s[20:21], v[231:232]
	s_delay_alu instid0(VALU_DEP_3) | instskip(NEXT) | instid1(VALU_DEP_2)
	v_add_f64_e32 v[195:196], v[195:196], v[88:89]
	v_fma_f64 v[235:236], v[233:234], s[14:15], -v[229:230]
	v_fma_f64 v[88:89], v[233:234], s[14:15], v[229:230]
	s_delay_alu instid0(VALU_DEP_2) | instskip(SKIP_1) | instid1(VALU_DEP_3)
	v_add_f64_e32 v[108:109], v[235:236], v[108:109]
	v_mul_f64_e32 v[235:236], s[20:21], v[237:238]
	v_add_f64_e32 v[88:89], v[88:89], v[90:91]
	s_delay_alu instid0(VALU_DEP_2) | instskip(SKIP_2) | instid1(VALU_DEP_3)
	v_fma_f64 v[197:198], v[239:240], s[14:15], -v[235:236]
	v_fma_f64 v[241:242], v[239:240], s[14:15], v[235:236]
	v_mul_f64_e32 v[235:236], s[22:23], v[231:232]
	v_add_f64_e32 v[90:91], v[197:198], v[195:196]
	v_mul_f64_e32 v[195:196], s[30:31], v[183:184]
	s_delay_alu instid0(VALU_DEP_4) | instskip(SKIP_1) | instid1(VALU_DEP_3)
	v_add_f64_e32 v[110:111], v[241:242], v[110:111]
	v_mul_f64_e32 v[241:242], s[22:23], v[237:238]
	v_fma_f64 v[197:198], v[181:182], s[24:25], -v[195:196]
	v_fma_f64 v[195:196], v[181:182], s[24:25], v[195:196]
	s_delay_alu instid0(VALU_DEP_2) | instskip(SKIP_1) | instid1(VALU_DEP_3)
	v_add_f64_e32 v[122:123], v[197:198], v[122:123]
	v_mul_f64_e32 v[197:198], s[30:31], v[189:190]
	v_add_f64_e32 v[98:99], v[195:196], v[98:99]
	s_mov_b32 s31, 0x3fcea1e5
	s_delay_alu instid0(VALU_DEP_2) | instskip(SKIP_2) | instid1(VALU_DEP_3)
	v_fma_f64 v[199:200], v[185:186], s[24:25], v[197:198]
	v_fma_f64 v[195:196], v[185:186], s[24:25], -v[197:198]
	v_fma_f64 v[197:198], v[239:240], s[16:17], -v[241:242]
	v_add_f64_e32 v[120:121], v[199:200], v[120:121]
	v_mul_f64_e32 v[199:200], s[38:39], v[191:192]
	s_delay_alu instid0(VALU_DEP_4) | instskip(NEXT) | instid1(VALU_DEP_2)
	v_add_f64_e32 v[96:97], v[195:196], v[96:97]
	v_fma_f64 v[201:202], v[187:188], s[10:11], -v[199:200]
	v_fma_f64 v[195:196], v[187:188], s[10:11], v[199:200]
	s_delay_alu instid0(VALU_DEP_2) | instskip(SKIP_1) | instid1(VALU_DEP_3)
	v_add_f64_e32 v[122:123], v[201:202], v[122:123]
	v_mul_f64_e32 v[201:202], s[38:39], v[193:194]
	v_add_f64_e32 v[98:99], v[195:196], v[98:99]
	s_delay_alu instid0(VALU_DEP_2) | instskip(SKIP_1) | instid1(VALU_DEP_2)
	v_fma_f64 v[205:206], v[203:204], s[10:11], v[201:202]
	v_fma_f64 v[195:196], v[203:204], s[10:11], -v[201:202]
	v_add_f64_e32 v[120:121], v[205:206], v[120:121]
	v_mul_f64_e32 v[205:206], s[20:21], v[207:208]
	s_delay_alu instid0(VALU_DEP_3) | instskip(NEXT) | instid1(VALU_DEP_2)
	v_add_f64_e32 v[96:97], v[195:196], v[96:97]
	v_fma_f64 v[211:212], v[209:210], s[14:15], -v[205:206]
	v_fma_f64 v[195:196], v[209:210], s[14:15], v[205:206]
	s_delay_alu instid0(VALU_DEP_2) | instskip(SKIP_1) | instid1(VALU_DEP_3)
	v_add_f64_e32 v[122:123], v[211:212], v[122:123]
	v_mul_f64_e32 v[211:212], s[20:21], v[213:214]
	v_add_f64_e32 v[98:99], v[195:196], v[98:99]
	s_delay_alu instid0(VALU_DEP_2) | instskip(SKIP_1) | instid1(VALU_DEP_2)
	v_fma_f64 v[217:218], v[215:216], s[14:15], v[211:212]
	v_fma_f64 v[195:196], v[215:216], s[14:15], -v[211:212]
	v_add_f64_e32 v[120:121], v[217:218], v[120:121]
	v_mul_f64_e32 v[217:218], s[26:27], v[219:220]
	s_delay_alu instid0(VALU_DEP_3) | instskip(NEXT) | instid1(VALU_DEP_2)
	v_add_f64_e32 v[96:97], v[195:196], v[96:97]
	v_fma_f64 v[223:224], v[221:222], s[2:3], -v[217:218]
	v_fma_f64 v[195:196], v[221:222], s[2:3], v[217:218]
	s_delay_alu instid0(VALU_DEP_2) | instskip(SKIP_1) | instid1(VALU_DEP_3)
	v_add_f64_e32 v[122:123], v[223:224], v[122:123]
	v_mul_f64_e32 v[223:224], s[26:27], v[225:226]
	v_add_f64_e32 v[98:99], v[195:196], v[98:99]
	s_delay_alu instid0(VALU_DEP_2) | instskip(SKIP_1) | instid1(VALU_DEP_2)
	v_fma_f64 v[195:196], v[227:228], s[2:3], -v[223:224]
	v_fma_f64 v[229:230], v[227:228], s[2:3], v[223:224]
	v_add_f64_e32 v[195:196], v[195:196], v[96:97]
	v_fma_f64 v[96:97], v[233:234], s[16:17], v[235:236]
	s_delay_alu instid0(VALU_DEP_3) | instskip(SKIP_1) | instid1(VALU_DEP_3)
	v_add_f64_e32 v[229:230], v[229:230], v[120:121]
	v_fma_f64 v[120:121], v[233:234], s[16:17], -v[235:236]
	v_add_f64_e32 v[96:97], v[96:97], v[98:99]
	v_add_f64_e32 v[98:99], v[197:198], v[195:196]
	v_mul_f64_e32 v[195:196], s[36:37], v[183:184]
	s_delay_alu instid0(VALU_DEP_4) | instskip(SKIP_1) | instid1(VALU_DEP_3)
	v_add_f64_e32 v[120:121], v[120:121], v[122:123]
	v_fma_f64 v[122:123], v[239:240], s[16:17], v[241:242]
	v_fma_f64 v[197:198], v[181:182], s[16:17], -v[195:196]
	v_fma_f64 v[195:196], v[181:182], s[16:17], v[195:196]
	s_delay_alu instid0(VALU_DEP_3) | instskip(NEXT) | instid1(VALU_DEP_3)
	v_add_f64_e32 v[122:123], v[122:123], v[229:230]
	v_add_f64_e32 v[134:135], v[197:198], v[134:135]
	v_mul_f64_e32 v[197:198], s[36:37], v[189:190]
	s_delay_alu instid0(VALU_DEP_4) | instskip(NEXT) | instid1(VALU_DEP_2)
	v_add_f64_e32 v[106:107], v[195:196], v[106:107]
	v_fma_f64 v[199:200], v[185:186], s[16:17], v[197:198]
	v_fma_f64 v[195:196], v[185:186], s[16:17], -v[197:198]
	s_delay_alu instid0(VALU_DEP_2) | instskip(SKIP_1) | instid1(VALU_DEP_3)
	v_add_f64_e32 v[132:133], v[199:200], v[132:133]
	v_mul_f64_e32 v[199:200], s[20:21], v[191:192]
	v_add_f64_e32 v[104:105], v[195:196], v[104:105]
	s_delay_alu instid0(VALU_DEP_2) | instskip(SKIP_1) | instid1(VALU_DEP_2)
	v_fma_f64 v[201:202], v[187:188], s[14:15], -v[199:200]
	v_fma_f64 v[195:196], v[187:188], s[14:15], v[199:200]
	v_add_f64_e32 v[134:135], v[201:202], v[134:135]
	v_mul_f64_e32 v[201:202], s[20:21], v[193:194]
	s_delay_alu instid0(VALU_DEP_3) | instskip(NEXT) | instid1(VALU_DEP_2)
	v_add_f64_e32 v[106:107], v[195:196], v[106:107]
	v_fma_f64 v[205:206], v[203:204], s[14:15], v[201:202]
	v_fma_f64 v[195:196], v[203:204], s[14:15], -v[201:202]
	s_delay_alu instid0(VALU_DEP_2) | instskip(SKIP_1) | instid1(VALU_DEP_3)
	v_add_f64_e32 v[132:133], v[205:206], v[132:133]
	v_mul_f64_e32 v[205:206], s[28:29], v[207:208]
	v_add_f64_e32 v[104:105], v[195:196], v[104:105]
	s_delay_alu instid0(VALU_DEP_2) | instskip(SKIP_1) | instid1(VALU_DEP_2)
	v_fma_f64 v[211:212], v[209:210], s[0:1], -v[205:206]
	v_fma_f64 v[195:196], v[209:210], s[0:1], v[205:206]
	v_add_f64_e32 v[134:135], v[211:212], v[134:135]
	v_mul_f64_e32 v[211:212], s[28:29], v[213:214]
	s_delay_alu instid0(VALU_DEP_3)
	v_add_f64_e32 v[106:107], v[195:196], v[106:107]
	s_mov_b32 s29, 0x3fea55e2
	s_mov_b32 s28, s26
	s_wait_alu 0xfffe
	v_mul_f64_e32 v[235:236], s[28:29], v[231:232]
	v_mul_f64_e32 v[241:242], s[28:29], v[237:238]
	s_delay_alu instid0(VALU_DEP_4) | instskip(SKIP_1) | instid1(VALU_DEP_3)
	v_fma_f64 v[217:218], v[215:216], s[0:1], v[211:212]
	v_fma_f64 v[195:196], v[215:216], s[0:1], -v[211:212]
	v_fma_f64 v[197:198], v[239:240], s[2:3], -v[241:242]
	s_delay_alu instid0(VALU_DEP_3) | instskip(SKIP_1) | instid1(VALU_DEP_4)
	v_add_f64_e32 v[132:133], v[217:218], v[132:133]
	v_mul_f64_e32 v[217:218], s[30:31], v[219:220]
	v_add_f64_e32 v[104:105], v[195:196], v[104:105]
	s_delay_alu instid0(VALU_DEP_2) | instskip(SKIP_1) | instid1(VALU_DEP_2)
	v_fma_f64 v[223:224], v[221:222], s[24:25], -v[217:218]
	v_fma_f64 v[195:196], v[221:222], s[24:25], v[217:218]
	v_add_f64_e32 v[134:135], v[223:224], v[134:135]
	v_mul_f64_e32 v[223:224], s[30:31], v[225:226]
	s_delay_alu instid0(VALU_DEP_3) | instskip(NEXT) | instid1(VALU_DEP_2)
	v_add_f64_e32 v[106:107], v[195:196], v[106:107]
	v_fma_f64 v[195:196], v[227:228], s[24:25], -v[223:224]
	v_fma_f64 v[229:230], v[227:228], s[24:25], v[223:224]
	s_delay_alu instid0(VALU_DEP_2) | instskip(SKIP_1) | instid1(VALU_DEP_3)
	v_add_f64_e32 v[195:196], v[195:196], v[104:105]
	v_fma_f64 v[104:105], v[233:234], s[2:3], v[235:236]
	v_add_f64_e32 v[229:230], v[229:230], v[132:133]
	v_fma_f64 v[132:133], v[233:234], s[2:3], -v[235:236]
	v_mul_f64_e32 v[235:236], s[18:19], v[231:232]
	s_delay_alu instid0(VALU_DEP_4)
	v_add_f64_e32 v[104:105], v[104:105], v[106:107]
	v_add_f64_e32 v[106:107], v[197:198], v[195:196]
	v_mul_f64_e32 v[195:196], s[34:35], v[183:184]
	v_add_f64_e32 v[132:133], v[132:133], v[134:135]
	v_fma_f64 v[134:135], v[239:240], s[2:3], v[241:242]
	v_mul_f64_e32 v[241:242], s[18:19], v[237:238]
	v_mul_f64_e32 v[183:184], s[20:21], v[183:184]
	v_fma_f64 v[197:198], v[181:182], s[0:1], -v[195:196]
	v_fma_f64 v[195:196], v[181:182], s[0:1], v[195:196]
	v_add_f64_e32 v[134:135], v[134:135], v[229:230]
	s_delay_alu instid0(VALU_DEP_4) | instskip(NEXT) | instid1(VALU_DEP_4)
	v_fma_f64 v[112:113], v[181:182], s[14:15], v[183:184]
	v_add_f64_e32 v[138:139], v[197:198], v[138:139]
	v_mul_f64_e32 v[197:198], s[34:35], v[189:190]
	v_add_f64_e32 v[126:127], v[195:196], v[126:127]
	v_mul_f64_e32 v[189:190], s[20:21], v[189:190]
	v_add_f64_e32 v[112:113], v[112:113], v[177:178]
	s_delay_alu instid0(VALU_DEP_4) | instskip(SKIP_3) | instid1(VALU_DEP_4)
	v_fma_f64 v[199:200], v[185:186], s[0:1], v[197:198]
	v_fma_f64 v[195:196], v[185:186], s[0:1], -v[197:198]
	v_fma_f64 v[197:198], v[239:240], s[10:11], -v[241:242]
	;; [unrolled: 1-line block ×3, first 2 shown]
	v_add_f64_e32 v[136:137], v[199:200], v[136:137]
	v_mul_f64_e32 v[199:200], s[26:27], v[191:192]
	v_add_f64_e32 v[124:125], v[195:196], v[124:125]
	v_mul_f64_e32 v[191:192], s[22:23], v[191:192]
	v_add_f64_e32 v[114:115], v[114:115], v[179:180]
	s_delay_alu instid0(VALU_DEP_4) | instskip(SKIP_1) | instid1(VALU_DEP_4)
	v_fma_f64 v[201:202], v[187:188], s[2:3], -v[199:200]
	v_fma_f64 v[195:196], v[187:188], s[2:3], v[199:200]
	v_fma_f64 v[116:117], v[187:188], s[16:17], v[191:192]
	s_delay_alu instid0(VALU_DEP_3) | instskip(SKIP_1) | instid1(VALU_DEP_4)
	v_add_f64_e32 v[138:139], v[201:202], v[138:139]
	v_mul_f64_e32 v[201:202], s[26:27], v[193:194]
	v_add_f64_e32 v[126:127], v[195:196], v[126:127]
	v_mul_f64_e32 v[193:194], s[22:23], v[193:194]
	v_add_f64_e32 v[112:113], v[116:117], v[112:113]
	s_delay_alu instid0(VALU_DEP_4) | instskip(SKIP_1) | instid1(VALU_DEP_4)
	v_fma_f64 v[205:206], v[203:204], s[2:3], v[201:202]
	v_fma_f64 v[195:196], v[203:204], s[2:3], -v[201:202]
	v_fma_f64 v[118:119], v[203:204], s[16:17], -v[193:194]
	s_delay_alu instid0(VALU_DEP_3) | instskip(SKIP_1) | instid1(VALU_DEP_4)
	v_add_f64_e32 v[136:137], v[205:206], v[136:137]
	v_mul_f64_e32 v[205:206], s[30:31], v[207:208]
	v_add_f64_e32 v[124:125], v[195:196], v[124:125]
	s_delay_alu instid0(VALU_DEP_4) | instskip(NEXT) | instid1(VALU_DEP_3)
	v_add_f64_e32 v[114:115], v[118:119], v[114:115]
	v_fma_f64 v[211:212], v[209:210], s[24:25], -v[205:206]
	v_fma_f64 v[195:196], v[209:210], s[24:25], v[205:206]
	s_delay_alu instid0(VALU_DEP_2) | instskip(SKIP_1) | instid1(VALU_DEP_3)
	v_add_f64_e32 v[138:139], v[211:212], v[138:139]
	v_mul_f64_e32 v[211:212], s[30:31], v[213:214]
	v_add_f64_e32 v[126:127], v[195:196], v[126:127]
	s_delay_alu instid0(VALU_DEP_2) | instskip(SKIP_2) | instid1(VALU_DEP_3)
	v_fma_f64 v[217:218], v[215:216], s[24:25], v[211:212]
	v_fma_f64 v[195:196], v[215:216], s[24:25], -v[211:212]
	v_mul_f64_e32 v[211:212], s[34:35], v[237:238]
	v_add_f64_e32 v[136:137], v[217:218], v[136:137]
	v_mul_f64_e32 v[217:218], s[20:21], v[219:220]
	s_delay_alu instid0(VALU_DEP_4) | instskip(NEXT) | instid1(VALU_DEP_2)
	v_add_f64_e32 v[124:125], v[195:196], v[124:125]
	v_fma_f64 v[223:224], v[221:222], s[14:15], -v[217:218]
	v_fma_f64 v[195:196], v[221:222], s[14:15], v[217:218]
	s_delay_alu instid0(VALU_DEP_2) | instskip(SKIP_1) | instid1(VALU_DEP_3)
	v_add_f64_e32 v[138:139], v[223:224], v[138:139]
	v_mul_f64_e32 v[223:224], s[20:21], v[225:226]
	v_add_f64_e32 v[126:127], v[195:196], v[126:127]
	s_delay_alu instid0(VALU_DEP_2) | instskip(SKIP_1) | instid1(VALU_DEP_2)
	v_fma_f64 v[195:196], v[227:228], s[14:15], -v[223:224]
	v_fma_f64 v[229:230], v[227:228], s[14:15], v[223:224]
	v_add_f64_e32 v[195:196], v[195:196], v[124:125]
	v_fma_f64 v[124:125], v[233:234], s[10:11], v[235:236]
	s_delay_alu instid0(VALU_DEP_3) | instskip(SKIP_1) | instid1(VALU_DEP_3)
	v_add_f64_e32 v[229:230], v[229:230], v[136:137]
	v_fma_f64 v[136:137], v[233:234], s[10:11], -v[235:236]
	v_add_f64_e32 v[124:125], v[124:125], v[126:127]
	v_add_f64_e32 v[126:127], v[197:198], v[195:196]
	v_fma_f64 v[195:196], v[181:182], s[14:15], -v[183:184]
	s_delay_alu instid0(VALU_DEP_4) | instskip(SKIP_1) | instid1(VALU_DEP_3)
	v_add_f64_e32 v[136:137], v[136:137], v[138:139]
	v_fma_f64 v[138:139], v[239:240], s[10:11], v[241:242]
	v_add_f64_e32 v[142:143], v[195:196], v[142:143]
	v_fma_f64 v[195:196], v[185:186], s[14:15], v[189:190]
	s_delay_alu instid0(VALU_DEP_3) | instskip(NEXT) | instid1(VALU_DEP_2)
	v_add_f64_e32 v[138:139], v[138:139], v[229:230]
	v_add_f64_e32 v[140:141], v[195:196], v[140:141]
	v_fma_f64 v[195:196], v[187:188], s[16:17], -v[191:192]
	s_delay_alu instid0(VALU_DEP_1) | instskip(SKIP_1) | instid1(VALU_DEP_1)
	v_add_f64_e32 v[142:143], v[195:196], v[142:143]
	v_fma_f64 v[195:196], v[203:204], s[16:17], v[193:194]
	v_add_f64_e32 v[140:141], v[195:196], v[140:141]
	v_mul_f64_e32 v[195:196], s[28:29], v[207:208]
	v_mul_f64_e32 v[207:208], s[34:35], v[231:232]
	s_delay_alu instid0(VALU_DEP_2) | instskip(SKIP_1) | instid1(VALU_DEP_2)
	v_fma_f64 v[197:198], v[209:210], s[2:3], -v[195:196]
	v_fma_f64 v[128:129], v[209:210], s[2:3], v[195:196]
	v_add_f64_e32 v[142:143], v[197:198], v[142:143]
	v_mul_f64_e32 v[197:198], s[28:29], v[213:214]
	s_delay_alu instid0(VALU_DEP_3) | instskip(SKIP_1) | instid1(VALU_DEP_3)
	v_add_f64_e32 v[112:113], v[128:129], v[112:113]
	v_fma_f64 v[128:129], v[233:234], s[0:1], v[207:208]
	v_fma_f64 v[199:200], v[215:216], s[2:3], v[197:198]
	v_fma_f64 v[130:131], v[215:216], s[2:3], -v[197:198]
	s_delay_alu instid0(VALU_DEP_2) | instskip(SKIP_1) | instid1(VALU_DEP_3)
	v_add_f64_e32 v[140:141], v[199:200], v[140:141]
	v_mul_f64_e32 v[199:200], s[18:19], v[219:220]
	v_add_f64_e32 v[114:115], v[130:131], v[114:115]
	v_fma_f64 v[130:131], v[239:240], s[0:1], -v[211:212]
	s_delay_alu instid0(VALU_DEP_3) | instskip(SKIP_1) | instid1(VALU_DEP_2)
	v_fma_f64 v[201:202], v[221:222], s[10:11], -v[199:200]
	v_fma_f64 v[116:117], v[221:222], s[10:11], v[199:200]
	v_add_f64_e32 v[142:143], v[201:202], v[142:143]
	v_mul_f64_e32 v[201:202], s[18:19], v[225:226]
	s_delay_alu instid0(VALU_DEP_3) | instskip(NEXT) | instid1(VALU_DEP_2)
	v_add_f64_e32 v[112:113], v[116:117], v[112:113]
	v_fma_f64 v[205:206], v[227:228], s[10:11], v[201:202]
	v_fma_f64 v[118:119], v[227:228], s[10:11], -v[201:202]
	s_delay_alu instid0(VALU_DEP_3) | instskip(NEXT) | instid1(VALU_DEP_3)
	v_add_f64_e32 v[144:145], v[128:129], v[112:113]
	v_add_f64_e32 v[205:206], v[205:206], v[140:141]
	v_fma_f64 v[140:141], v[233:234], s[0:1], -v[207:208]
	s_delay_alu instid0(VALU_DEP_4) | instskip(NEXT) | instid1(VALU_DEP_2)
	v_add_f64_e32 v[114:115], v[118:119], v[114:115]
	v_add_f64_e32 v[140:141], v[140:141], v[142:143]
	v_fma_f64 v[142:143], v[239:240], s[0:1], v[211:212]
	s_delay_alu instid0(VALU_DEP_3) | instskip(NEXT) | instid1(VALU_DEP_2)
	v_add_f64_e32 v[146:147], v[130:131], v[114:115]
	v_add_f64_e32 v[142:143], v[142:143], v[205:206]
	s_and_saveexec_b32 s0, vcc_lo
	s_cbranch_execz .LBB0_11
; %bb.10:
	ds_store_b128 v255, v[92:95]
	ds_store_b128 v255, v[100:103] offset:2080
	ds_store_b128 v255, v[108:111] offset:4160
	;; [unrolled: 1-line block ×12, first 2 shown]
.LBB0_11:
	s_wait_alu 0xfffe
	s_or_b32 exec_lo, exec_lo, s0
	global_wb scope:SCOPE_SE
	s_wait_dscnt 0x0
	s_barrier_signal -1
	s_barrier_wait -1
	global_inv scope:SCOPE_SE
	s_and_saveexec_b32 s2, vcc_lo
	s_cbranch_execz .LBB0_13
; %bb.12:
	global_load_b128 v[112:115], v255, s[8:9] offset:27040
	s_add_nc_u64 s[0:1], s[8:9], 0x69a0
	s_clause 0x3
	global_load_b128 v[116:119], v255, s[0:1] offset:2080
	global_load_b128 v[128:131], v255, s[0:1] offset:4160
	;; [unrolled: 1-line block ×4, first 2 shown]
	ds_load_b128 v[157:160], v255
	ds_load_b128 v[161:164], v255 offset:2080
	ds_load_b128 v[165:168], v255 offset:24960
	s_wait_loadcnt_dscnt 0x301
	v_mul_f64_e32 v[173:174], v[163:164], v[118:119]
	v_mul_f64_e32 v[169:170], v[159:160], v[114:115]
	;; [unrolled: 1-line block ×4, first 2 shown]
	s_delay_alu instid0(VALU_DEP_4) | instskip(NEXT) | instid1(VALU_DEP_4)
	v_fma_f64 v[161:162], v[161:162], v[116:117], -v[173:174]
	v_fma_f64 v[157:158], v[157:158], v[112:113], -v[169:170]
	s_delay_alu instid0(VALU_DEP_4)
	v_fma_f64 v[159:160], v[159:160], v[112:113], v[114:115]
	ds_load_b128 v[112:115], v255 offset:4160
	ds_load_b128 v[169:172], v255 offset:6240
	v_fma_f64 v[163:164], v[163:164], v[116:117], v[118:119]
	s_wait_loadcnt_dscnt 0x201
	v_mul_f64_e32 v[116:117], v[114:115], v[130:131]
	v_mul_f64_e32 v[118:119], v[112:113], v[130:131]
	s_wait_loadcnt_dscnt 0x100
	v_mul_f64_e32 v[173:174], v[171:172], v[151:152]
	v_mul_f64_e32 v[151:152], v[169:170], v[151:152]
	s_delay_alu instid0(VALU_DEP_4) | instskip(NEXT) | instid1(VALU_DEP_4)
	v_fma_f64 v[112:113], v[112:113], v[128:129], -v[116:117]
	v_fma_f64 v[114:115], v[114:115], v[128:129], v[118:119]
	ds_load_b128 v[128:131], v255 offset:8320
	global_load_b128 v[116:119], v255, s[0:1] offset:10400
	v_fma_f64 v[169:170], v[169:170], v[149:150], -v[173:174]
	v_fma_f64 v[171:172], v[171:172], v[149:150], v[151:152]
	ds_load_b128 v[149:152], v255 offset:10400
	s_wait_loadcnt_dscnt 0x101
	v_mul_f64_e32 v[173:174], v[130:131], v[155:156]
	v_mul_f64_e32 v[155:156], v[128:129], v[155:156]
	s_delay_alu instid0(VALU_DEP_2) | instskip(NEXT) | instid1(VALU_DEP_2)
	v_fma_f64 v[128:129], v[128:129], v[153:154], -v[173:174]
	v_fma_f64 v[130:131], v[130:131], v[153:154], v[155:156]
	global_load_b128 v[153:156], v255, s[0:1] offset:12480
	s_wait_loadcnt_dscnt 0x100
	v_mul_f64_e32 v[173:174], v[151:152], v[118:119]
	v_mul_f64_e32 v[118:119], v[149:150], v[118:119]
	s_delay_alu instid0(VALU_DEP_2) | instskip(NEXT) | instid1(VALU_DEP_2)
	v_fma_f64 v[149:150], v[149:150], v[116:117], -v[173:174]
	v_fma_f64 v[151:152], v[151:152], v[116:117], v[118:119]
	ds_load_b128 v[116:119], v255 offset:12480
	ds_load_b128 v[173:176], v255 offset:14560
	s_wait_loadcnt_dscnt 0x1
	v_mul_f64_e32 v[177:178], v[118:119], v[155:156]
	v_mul_f64_e32 v[155:156], v[116:117], v[155:156]
	s_delay_alu instid0(VALU_DEP_2) | instskip(NEXT) | instid1(VALU_DEP_2)
	v_fma_f64 v[116:117], v[116:117], v[153:154], -v[177:178]
	v_fma_f64 v[118:119], v[118:119], v[153:154], v[155:156]
	s_clause 0x1
	global_load_b128 v[153:156], v255, s[0:1] offset:14560
	global_load_b128 v[177:180], v255, s[0:1] offset:16640
	s_wait_loadcnt_dscnt 0x100
	v_mul_f64_e32 v[181:182], v[175:176], v[155:156]
	v_mul_f64_e32 v[155:156], v[173:174], v[155:156]
	s_delay_alu instid0(VALU_DEP_2) | instskip(NEXT) | instid1(VALU_DEP_2)
	v_fma_f64 v[173:174], v[173:174], v[153:154], -v[181:182]
	v_fma_f64 v[175:176], v[175:176], v[153:154], v[155:156]
	ds_load_b128 v[153:156], v255 offset:16640
	ds_load_b128 v[181:184], v255 offset:18720
	s_wait_loadcnt_dscnt 0x1
	v_mul_f64_e32 v[185:186], v[155:156], v[179:180]
	v_mul_f64_e32 v[179:180], v[153:154], v[179:180]
	s_delay_alu instid0(VALU_DEP_2) | instskip(NEXT) | instid1(VALU_DEP_2)
	v_fma_f64 v[153:154], v[153:154], v[177:178], -v[185:186]
	v_fma_f64 v[155:156], v[155:156], v[177:178], v[179:180]
	s_clause 0x1
	global_load_b128 v[177:180], v255, s[0:1] offset:18720
	;; [unrolled: 17-line block ×3, first 2 shown]
	global_load_b128 v[197:200], v255, s[0:1] offset:24960
	s_wait_loadcnt_dscnt 0x100
	v_mul_f64_e32 v[177:178], v[195:196], v[189:190]
	v_mul_f64_e32 v[191:192], v[193:194], v[189:190]
	s_delay_alu instid0(VALU_DEP_2) | instskip(NEXT) | instid1(VALU_DEP_2)
	v_fma_f64 v[189:190], v[193:194], v[187:188], -v[177:178]
	v_fma_f64 v[191:192], v[195:196], v[187:188], v[191:192]
	s_wait_loadcnt 0x0
	v_mul_f64_e32 v[177:178], v[167:168], v[199:200]
	v_mul_f64_e32 v[187:188], v[165:166], v[199:200]
	s_delay_alu instid0(VALU_DEP_2) | instskip(NEXT) | instid1(VALU_DEP_2)
	v_fma_f64 v[165:166], v[165:166], v[197:198], -v[177:178]
	v_fma_f64 v[167:168], v[167:168], v[197:198], v[187:188]
	ds_store_b128 v255, v[157:160]
	ds_store_b128 v255, v[161:164] offset:2080
	ds_store_b128 v255, v[112:115] offset:4160
	;; [unrolled: 1-line block ×12, first 2 shown]
.LBB0_13:
	s_wait_alu 0xfffe
	s_or_b32 exec_lo, exec_lo, s2
	global_wb scope:SCOPE_SE
	s_wait_dscnt 0x0
	s_barrier_signal -1
	s_barrier_wait -1
	global_inv scope:SCOPE_SE
	s_and_saveexec_b32 s0, vcc_lo
	s_cbranch_execz .LBB0_15
; %bb.14:
	ds_load_b128 v[92:95], v255
	ds_load_b128 v[100:103], v255 offset:2080
	ds_load_b128 v[108:111], v255 offset:4160
	;; [unrolled: 1-line block ×12, first 2 shown]
.LBB0_15:
	s_wait_alu 0xfffe
	s_or_b32 exec_lo, exec_lo, s0
	s_wait_dscnt 0x0
	v_add_f64_e64 v[167:168], v[102:103], -v[86:87]
	v_add_f64_e64 v[157:158], v[110:111], -v[90:91]
	s_mov_b32 s18, 0x4267c47c
	s_mov_b32 s10, 0x42a4c3d2
	;; [unrolled: 1-line block ×4, first 2 shown]
	v_add_f64_e32 v[165:166], v[100:101], v[84:85]
	v_add_f64_e32 v[163:164], v[110:111], v[90:91]
	s_mov_b32 s0, 0xe00740e9
	s_mov_b32 s2, 0x1ea71119
	;; [unrolled: 1-line block ×4, first 2 shown]
	v_add_f64_e32 v[149:150], v[108:109], v[88:89]
	v_add_f64_e32 v[219:220], v[102:103], v[86:87]
	v_add_f64_e64 v[215:216], v[100:101], -v[84:85]
	v_add_f64_e64 v[153:154], v[108:109], -v[88:89]
	;; [unrolled: 1-line block ×3, first 2 shown]
	s_mov_b32 s16, 0x66966769
	s_mov_b32 s17, 0xbfefc445
	v_add_f64_e32 v[159:160], v[120:121], v[96:97]
	s_mov_b32 s14, 0xebaa3ed8
	s_mov_b32 s15, 0x3fbedb7d
	v_add_f64_e32 v[181:182], v[122:123], v[98:99]
	v_add_f64_e64 v[169:170], v[120:121], -v[96:97]
	v_add_f64_e64 v[201:202], v[134:135], -v[106:107]
	s_mov_b32 s22, 0x2ef20147
	s_mov_b32 s23, 0xbfedeba7
	v_add_f64_e32 v[173:174], v[132:133], v[104:105]
	s_mov_b32 s20, 0xb2365da1
	s_mov_b32 s21, 0xbfd6b1d8
	v_add_f64_e32 v[199:200], v[134:135], v[106:107]
	v_add_f64_e64 v[187:188], v[132:133], -v[104:105]
	v_add_f64_e64 v[207:208], v[138:139], -v[126:127]
	s_mov_b32 s30, 0x24c2f84
	s_mov_b32 s31, 0x3fe5384d
	;; [unrolled: 1-line block ×3, first 2 shown]
	s_wait_alu 0xfffe
	s_mov_b32 s26, s30
	v_add_f64_e32 v[183:184], v[136:137], v[124:125]
	v_mul_f64_e32 v[112:113], s[18:19], v[167:168]
	v_mul_f64_e32 v[114:115], s[10:11], v[157:158]
	v_add_f64_e32 v[205:206], v[138:139], v[126:127]
	s_mov_b32 s24, 0xd0032e0c
	s_mov_b32 s25, 0xbfe7f3cc
	v_add_f64_e64 v[195:196], v[136:137], -v[124:125]
	v_add_f64_e64 v[211:212], v[142:143], -v[146:147]
	v_mul_f64_e32 v[116:117], s[2:3], v[163:164]
	s_mov_b32 s35, 0xbfcea1e5
	s_mov_b32 s34, 0x4bc48dbf
	v_add_f64_e32 v[191:192], v[140:141], v[144:145]
	v_add_f64_e32 v[209:210], v[142:143], v[146:147]
	s_mov_b32 s28, 0x93053d00
	v_mul_f64_e32 v[217:218], s[0:1], v[219:220]
	s_mov_b32 s29, 0xbfef11f4
	v_add_f64_e64 v[213:214], v[140:141], -v[144:145]
	v_mul_f64_e32 v[171:172], s[10:11], v[167:168]
	v_mul_f64_e32 v[221:222], s[22:23], v[157:158]
	;; [unrolled: 1-line block ×4, first 2 shown]
	s_wait_alu 0xfffe
	v_mul_f64_e32 v[223:224], s[34:35], v[179:180]
	s_mov_b32 s39, 0x3fefc445
	v_mul_f64_e32 v[237:238], s[28:29], v[181:182]
	s_mov_b32 s38, s16
	;; [unrolled: 2-line block ×3, first 2 shown]
	s_mov_b32 s36, s18
	v_mul_f64_e32 v[177:178], s[16:17], v[167:168]
	v_mul_f64_e32 v[227:228], s[34:35], v[157:158]
	;; [unrolled: 1-line block ×5, first 2 shown]
	s_wait_alu 0xfffe
	v_mul_f64_e32 v[231:232], s[38:39], v[207:208]
	s_mov_b32 s41, 0x3fedeba7
	s_mov_b32 s40, s22
	v_mul_f64_e32 v[155:156], s[20:21], v[181:182]
	s_wait_alu 0xfffe
	v_mul_f64_e32 v[247:248], s[40:41], v[179:180]
	v_mul_f64_e32 v[249:250], s[36:37], v[201:202]
	;; [unrolled: 1-line block ×3, first 2 shown]
	s_clause 0x1
	scratch_store_b64 off, v[114:115], off offset:16
	scratch_store_b64 off, v[112:113], off offset:56
	v_fma_f64 v[112:113], v[165:166], s[0:1], -v[112:113]
	v_fma_f64 v[114:115], v[149:150], s[2:3], -v[114:115]
	v_mul_f64_e32 v[197:198], s[24:25], v[205:206]
	v_mul_f64_e32 v[193:194], s[34:35], v[211:212]
	scratch_store_b64 off, v[116:117], off offset:24 ; 8-byte Folded Spill
	v_fma_f64 v[116:117], v[153:154], s[10:11], v[116:117]
	v_mul_f64_e32 v[239:240], s[14:15], v[205:206]
	v_mul_f64_e32 v[233:234], s[36:37], v[211:212]
	;; [unrolled: 1-line block ×7, first 2 shown]
	v_fma_f64 v[118:119], v[149:150], s[20:21], -v[221:222]
	v_fma_f64 v[128:129], v[153:154], s[22:23], v[225:226]
	v_fma_f64 v[130:131], v[149:150], s[28:29], -v[227:228]
	v_fma_f64 v[151:152], v[153:154], s[34:35], v[243:244]
	v_add_f64_e32 v[112:113], v[92:93], v[112:113]
	s_delay_alu instid0(VALU_DEP_1) | instskip(SKIP_1) | instid1(VALU_DEP_1)
	v_add_f64_e32 v[112:113], v[114:115], v[112:113]
	v_fma_f64 v[114:115], v[215:216], s[18:19], v[217:218]
	v_add_f64_e32 v[114:115], v[94:95], v[114:115]
	s_delay_alu instid0(VALU_DEP_1) | instskip(SKIP_3) | instid1(VALU_DEP_1)
	v_add_f64_e32 v[114:115], v[116:117], v[114:115]
	v_mul_f64_e32 v[116:117], s[16:17], v[179:180]
	scratch_store_b64 off, v[116:117], off offset:32 ; 8-byte Folded Spill
	v_fma_f64 v[116:117], v[159:160], s[14:15], -v[116:117]
	v_add_f64_e32 v[112:113], v[116:117], v[112:113]
	v_mul_f64_e32 v[116:117], s[14:15], v[181:182]
	scratch_store_b64 off, v[116:117], off offset:40 ; 8-byte Folded Spill
	v_fma_f64 v[116:117], v[169:170], s[16:17], v[116:117]
	s_delay_alu instid0(VALU_DEP_1) | instskip(SKIP_3) | instid1(VALU_DEP_1)
	v_add_f64_e32 v[114:115], v[116:117], v[114:115]
	v_mul_f64_e32 v[116:117], s[22:23], v[201:202]
	scratch_store_b64 off, v[116:117], off offset:48 ; 8-byte Folded Spill
	v_fma_f64 v[116:117], v[173:174], s[20:21], -v[116:117]
	v_add_f64_e32 v[112:113], v[116:117], v[112:113]
	v_mul_f64_e32 v[116:117], s[20:21], v[199:200]
	scratch_store_b64 off, v[116:117], off offset:72 ; 8-byte Folded Spill
	v_fma_f64 v[116:117], v[187:188], s[22:23], v[116:117]
	s_delay_alu instid0(VALU_DEP_1)
	v_add_f64_e32 v[114:115], v[116:117], v[114:115]
	v_mul_f64_e32 v[116:117], s[26:27], v[207:208]
	scratch_store_b64 off, v[116:117], off offset:64 ; 8-byte Folded Spill
	v_fma_f64 v[116:117], v[183:184], s[24:25], -v[116:117]
	global_wb scope:SCOPE_SE
	s_wait_storecnt 0x0
	s_barrier_signal -1
	s_barrier_wait -1
	global_inv scope:SCOPE_SE
	v_add_f64_e32 v[112:113], v[116:117], v[112:113]
	v_fma_f64 v[116:117], v[195:196], s[26:27], v[197:198]
	s_delay_alu instid0(VALU_DEP_1) | instskip(SKIP_1) | instid1(VALU_DEP_1)
	v_add_f64_e32 v[114:115], v[116:117], v[114:115]
	v_fma_f64 v[116:117], v[191:192], s[28:29], -v[193:194]
	v_add_f64_e32 v[112:113], v[116:117], v[112:113]
	v_fma_f64 v[116:117], v[213:214], s[34:35], v[203:204]
	s_delay_alu instid0(VALU_DEP_1) | instskip(SKIP_1) | instid1(VALU_DEP_1)
	v_add_f64_e32 v[114:115], v[116:117], v[114:115]
	v_fma_f64 v[116:117], v[165:166], s[2:3], -v[171:172]
	v_add_f64_e32 v[116:117], v[92:93], v[116:117]
	s_delay_alu instid0(VALU_DEP_1) | instskip(SKIP_1) | instid1(VALU_DEP_1)
	v_add_f64_e32 v[116:117], v[118:119], v[116:117]
	v_fma_f64 v[118:119], v[215:216], s[10:11], v[175:176]
	v_add_f64_e32 v[118:119], v[94:95], v[118:119]
	s_delay_alu instid0(VALU_DEP_1) | instskip(SKIP_1) | instid1(VALU_DEP_1)
	v_add_f64_e32 v[118:119], v[128:129], v[118:119]
	v_fma_f64 v[128:129], v[159:160], s[28:29], -v[223:224]
	v_add_f64_e32 v[116:117], v[128:129], v[116:117]
	v_fma_f64 v[128:129], v[169:170], s[34:35], v[237:238]
	s_delay_alu instid0(VALU_DEP_1) | instskip(SKIP_1) | instid1(VALU_DEP_1)
	v_add_f64_e32 v[118:119], v[128:129], v[118:119]
	v_fma_f64 v[128:129], v[173:174], s[24:25], -v[229:230]
	v_add_f64_e32 v[116:117], v[128:129], v[116:117]
	v_fma_f64 v[128:129], v[187:188], s[30:31], v[235:236]
	;; [unrolled: 5-line block ×4, first 2 shown]
	s_delay_alu instid0(VALU_DEP_1) | instskip(SKIP_1) | instid1(VALU_DEP_1)
	v_add_f64_e32 v[118:119], v[128:129], v[118:119]
	v_fma_f64 v[128:129], v[165:166], s[14:15], -v[177:178]
	v_add_f64_e32 v[128:129], v[92:93], v[128:129]
	s_delay_alu instid0(VALU_DEP_1) | instskip(SKIP_1) | instid1(VALU_DEP_1)
	v_add_f64_e32 v[128:129], v[130:131], v[128:129]
	v_fma_f64 v[130:131], v[215:216], s[16:17], v[185:186]
	v_add_f64_e32 v[130:131], v[94:95], v[130:131]
	s_delay_alu instid0(VALU_DEP_1) | instskip(SKIP_1) | instid1(VALU_DEP_1)
	v_add_f64_e32 v[130:131], v[151:152], v[130:131]
	v_fma_f64 v[151:152], v[159:160], s[20:21], -v[247:248]
	v_add_f64_e32 v[128:129], v[151:152], v[128:129]
	v_fma_f64 v[151:152], v[169:170], s[40:41], v[155:156]
	s_delay_alu instid0(VALU_DEP_1) | instskip(SKIP_1) | instid1(VALU_DEP_1)
	v_add_f64_e32 v[130:131], v[151:152], v[130:131]
	v_fma_f64 v[151:152], v[173:174], s[0:1], -v[249:250]
	v_add_f64_e32 v[128:129], v[151:152], v[128:129]
	v_fma_f64 v[151:152], v[187:188], s[36:37], v[253:254]
	;; [unrolled: 5-line block ×3, first 2 shown]
	s_delay_alu instid0(VALU_DEP_1) | instskip(SKIP_1) | instid1(VALU_DEP_1)
	v_add_f64_e32 v[130:131], v[151:152], v[130:131]
	v_fma_f64 v[151:152], v[191:192], s[24:25], -v[245:246]
	v_add_f64_e32 v[128:129], v[151:152], v[128:129]
	v_mul_f64_e32 v[151:152], s[24:25], v[209:210]
	s_delay_alu instid0(VALU_DEP_1) | instskip(NEXT) | instid1(VALU_DEP_1)
	v_fma_f64 v[189:190], v[213:214], s[26:27], v[151:152]
	v_add_f64_e32 v[130:131], v[189:190], v[130:131]
	s_and_saveexec_b32 s33, vcc_lo
	s_cbranch_execz .LBB0_17
; %bb.16:
	v_add_f64_e32 v[100:101], v[92:93], v[100:101]
	v_add_f64_e32 v[102:103], v[94:95], v[102:103]
	v_mul_f64_e32 v[189:190], s[22:23], v[213:214]
	s_delay_alu instid0(VALU_DEP_3) | instskip(NEXT) | instid1(VALU_DEP_3)
	v_add_f64_e32 v[100:101], v[100:101], v[108:109]
	v_add_f64_e32 v[102:103], v[102:103], v[110:111]
	v_mul_f64_e32 v[110:111], s[2:3], v[165:166]
	v_mul_f64_e32 v[108:109], s[10:11], v[215:216]
	s_delay_alu instid0(VALU_DEP_4) | instskip(NEXT) | instid1(VALU_DEP_4)
	v_add_f64_e32 v[100:101], v[100:101], v[120:121]
	v_add_f64_e32 v[102:103], v[102:103], v[122:123]
	v_mul_f64_e32 v[122:123], s[34:35], v[167:168]
	v_add_f64_e32 v[110:111], v[110:111], v[171:172]
	v_mul_f64_e32 v[120:121], s[18:19], v[215:216]
	v_add_f64_e64 v[108:109], v[175:176], -v[108:109]
	s_mov_b32 s19, 0x3fea55e2
	s_mov_b32 s18, s10
	v_mul_f64_e32 v[175:176], s[38:39], v[213:214]
	v_add_f64_e32 v[100:101], v[100:101], v[132:133]
	v_add_f64_e32 v[102:103], v[102:103], v[134:135]
	v_fma_f64 v[132:133], v[165:166], s[28:29], -v[122:123]
	v_fma_f64 v[122:123], v[165:166], s[28:29], v[122:123]
	v_add_f64_e64 v[120:121], v[217:218], -v[120:121]
	v_mul_f64_e32 v[217:218], s[20:21], v[149:150]
	v_add_f64_e32 v[100:101], v[100:101], v[136:137]
	v_add_f64_e32 v[102:103], v[102:103], v[138:139]
	v_mul_f64_e32 v[138:139], s[0:1], v[165:166]
	v_add_f64_e32 v[132:133], v[92:93], v[132:133]
	v_add_f64_e32 v[122:123], v[92:93], v[122:123]
	;; [unrolled: 1-line block ×3, first 2 shown]
	v_mul_f64_e32 v[221:222], s[30:31], v[187:188]
	v_add_f64_e32 v[100:101], v[100:101], v[140:141]
	scratch_load_b64 v[140:141], off, off offset:56 th:TH_LOAD_LU ; 8-byte Folded Reload
	v_add_f64_e32 v[102:103], v[102:103], v[142:143]
	v_add_f64_e64 v[221:222], v[235:236], -v[221:222]
	v_add_f64_e32 v[100:101], v[100:101], v[144:145]
	s_delay_alu instid0(VALU_DEP_3) | instskip(NEXT) | instid1(VALU_DEP_2)
	v_add_f64_e32 v[102:103], v[102:103], v[146:147]
	v_add_f64_e32 v[100:101], v[100:101], v[124:125]
	v_mul_f64_e32 v[124:125], s[26:27], v[167:168]
	s_delay_alu instid0(VALU_DEP_3) | instskip(SKIP_1) | instid1(VALU_DEP_4)
	v_add_f64_e32 v[102:103], v[102:103], v[126:127]
	v_mul_f64_e32 v[126:127], s[22:23], v[167:168]
	v_add_f64_e32 v[100:101], v[100:101], v[104:105]
	s_delay_alu instid0(VALU_DEP_4) | instskip(NEXT) | instid1(VALU_DEP_4)
	v_fma_f64 v[134:135], v[165:166], s[24:25], -v[124:125]
	v_add_f64_e32 v[102:103], v[102:103], v[106:107]
	v_mul_f64_e32 v[106:107], s[14:15], v[165:166]
	v_fma_f64 v[124:125], v[165:166], s[24:25], v[124:125]
	v_fma_f64 v[136:137], v[165:166], s[20:21], -v[126:127]
	v_fma_f64 v[126:127], v[165:166], s[20:21], v[126:127]
	v_mul_f64_e32 v[104:105], s[16:17], v[215:216]
	v_add_f64_e32 v[165:166], v[94:95], v[120:121]
	v_add_f64_e32 v[96:97], v[100:101], v[96:97]
	v_mul_f64_e32 v[100:101], s[22:23], v[215:216]
	v_add_f64_e32 v[98:99], v[102:103], v[98:99]
	v_add_f64_e32 v[106:107], v[106:107], v[177:178]
	;; [unrolled: 1-line block ×6, first 2 shown]
	v_add_f64_e64 v[104:105], v[185:186], -v[104:105]
	v_mul_f64_e32 v[177:178], s[38:39], v[211:212]
	v_add_f64_e32 v[88:89], v[96:97], v[88:89]
	v_mul_f64_e32 v[96:97], s[26:27], v[215:216]
	v_add_f64_e32 v[90:91], v[98:99], v[90:91]
	v_fma_f64 v[102:103], v[219:220], s[20:21], v[100:101]
	v_add_f64_e32 v[106:107], v[92:93], v[106:107]
	v_fma_f64 v[100:101], v[219:220], s[20:21], -v[100:101]
	v_add_f64_e32 v[104:105], v[94:95], v[104:105]
	v_add_f64_e32 v[84:85], v[88:89], v[84:85]
	v_mul_f64_e32 v[88:89], s[34:35], v[215:216]
	v_add_f64_e32 v[86:87], v[90:91], v[86:87]
	v_fma_f64 v[98:99], v[219:220], s[24:25], v[96:97]
	v_fma_f64 v[96:97], v[219:220], s[24:25], -v[96:97]
	v_add_f64_e32 v[144:145], v[94:95], v[102:103]
	v_add_f64_e32 v[102:103], v[92:93], v[110:111]
	;; [unrolled: 1-line block ×4, first 2 shown]
	v_mul_f64_e32 v[215:216], s[22:23], v[211:212]
	s_wait_alu 0xfffe
	v_mul_f64_e32 v[211:212], s[18:19], v[211:212]
	v_fma_f64 v[90:91], v[219:220], s[28:29], v[88:89]
	v_fma_f64 v[88:89], v[219:220], s[28:29], -v[88:89]
	v_add_f64_e32 v[98:99], v[94:95], v[98:99]
	v_add_f64_e32 v[142:143], v[94:95], v[96:97]
	v_mul_f64_e32 v[96:97], s[26:27], v[169:170]
	v_mul_f64_e32 v[219:220], s[28:29], v[159:160]
	v_add_f64_e32 v[102:103], v[217:218], v[102:103]
	v_mul_f64_e32 v[217:218], s[0:1], v[191:192]
	v_add_f64_e32 v[90:91], v[94:95], v[90:91]
	v_fma_f64 v[108:109], v[181:182], s[24:25], v[96:97]
	v_fma_f64 v[96:97], v[181:182], s[24:25], -v[96:97]
	v_add_f64_e32 v[219:220], v[219:220], v[223:224]
	v_mul_f64_e32 v[223:224], s[24:25], v[173:174]
	v_add_f64_e32 v[217:218], v[217:218], v[233:234]
	s_wait_loadcnt 0x0
	v_add_f64_e32 v[138:139], v[138:139], v[140:141]
	v_add_f64_e32 v[140:141], v[94:95], v[88:89]
	v_mul_f64_e32 v[94:95], s[36:37], v[157:158]
	v_add_f64_e32 v[102:103], v[219:220], v[102:103]
	v_add_f64_e32 v[223:224], v[223:224], v[229:230]
	v_mul_f64_e32 v[219:220], s[0:1], v[173:174]
	v_add_f64_e32 v[138:139], v[92:93], v[138:139]
	v_mul_f64_e32 v[92:93], s[36:37], v[153:154]
	s_delay_alu instid0(VALU_DEP_4) | instskip(NEXT) | instid1(VALU_DEP_4)
	v_add_f64_e32 v[102:103], v[223:224], v[102:103]
	v_add_f64_e32 v[219:220], v[219:220], v[249:250]
	s_delay_alu instid0(VALU_DEP_3) | instskip(SKIP_1) | instid1(VALU_DEP_2)
	v_fma_f64 v[88:89], v[163:164], s[0:1], v[92:93]
	v_fma_f64 v[92:93], v[163:164], s[0:1], -v[92:93]
	v_add_f64_e32 v[88:89], v[88:89], v[90:91]
	v_fma_f64 v[90:91], v[149:150], s[0:1], -v[94:95]
	s_delay_alu instid0(VALU_DEP_3)
	v_add_f64_e32 v[92:93], v[92:93], v[140:141]
	v_fma_f64 v[94:95], v[149:150], s[0:1], v[94:95]
	v_mul_f64_e32 v[140:141], s[34:35], v[213:214]
	v_add_f64_e32 v[88:89], v[108:109], v[88:89]
	v_mul_f64_e32 v[108:109], s[26:27], v[179:180]
	v_add_f64_e32 v[90:91], v[90:91], v[132:133]
	v_add_f64_e32 v[94:95], v[94:95], v[122:123]
	;; [unrolled: 1-line block ×3, first 2 shown]
	v_mul_f64_e32 v[122:123], s[38:39], v[157:158]
	v_add_f64_e64 v[140:141], v[203:204], -v[140:141]
	v_fma_f64 v[110:111], v[159:160], s[24:25], -v[108:109]
	v_fma_f64 v[96:97], v[159:160], s[24:25], v[108:109]
	v_fma_f64 v[108:109], v[191:192], s[14:15], v[177:178]
	s_delay_alu instid0(VALU_DEP_3) | instskip(SKIP_1) | instid1(VALU_DEP_4)
	v_add_f64_e32 v[90:91], v[110:111], v[90:91]
	v_mul_f64_e32 v[110:111], s[18:19], v[187:188]
	v_add_f64_e32 v[94:95], v[96:97], v[94:95]
	s_delay_alu instid0(VALU_DEP_2) | instskip(SKIP_2) | instid1(VALU_DEP_3)
	v_fma_f64 v[120:121], v[199:200], s[2:3], v[110:111]
	v_fma_f64 v[96:97], v[199:200], s[2:3], -v[110:111]
	v_mul_f64_e32 v[110:111], s[34:35], v[169:170]
	v_add_f64_e32 v[88:89], v[120:121], v[88:89]
	v_mul_f64_e32 v[120:121], s[18:19], v[201:202]
	s_delay_alu instid0(VALU_DEP_4) | instskip(NEXT) | instid1(VALU_DEP_4)
	v_add_f64_e32 v[92:93], v[96:97], v[92:93]
	v_add_f64_e64 v[110:111], v[237:238], -v[110:111]
	s_delay_alu instid0(VALU_DEP_3) | instskip(SKIP_2) | instid1(VALU_DEP_3)
	v_fma_f64 v[132:133], v[173:174], s[2:3], -v[120:121]
	v_fma_f64 v[96:97], v[173:174], s[2:3], v[120:121]
	v_mul_f64_e32 v[120:121], s[38:39], v[153:154]
	v_add_f64_e32 v[90:91], v[132:133], v[90:91]
	v_mul_f64_e32 v[132:133], s[22:23], v[195:196]
	s_delay_alu instid0(VALU_DEP_4) | instskip(NEXT) | instid1(VALU_DEP_2)
	v_add_f64_e32 v[94:95], v[96:97], v[94:95]
	v_fma_f64 v[167:168], v[205:206], s[20:21], v[132:133]
	v_fma_f64 v[96:97], v[205:206], s[20:21], -v[132:133]
	v_mul_f64_e32 v[132:133], s[10:11], v[169:170]
	s_delay_alu instid0(VALU_DEP_3) | instskip(SKIP_1) | instid1(VALU_DEP_4)
	v_add_f64_e32 v[88:89], v[167:168], v[88:89]
	v_mul_f64_e32 v[167:168], s[22:23], v[207:208]
	v_add_f64_e32 v[92:93], v[96:97], v[92:93]
	s_delay_alu instid0(VALU_DEP_2) | instskip(SKIP_1) | instid1(VALU_DEP_2)
	v_fma_f64 v[96:97], v[183:184], s[20:21], v[167:168]
	v_fma_f64 v[171:172], v[183:184], s[20:21], -v[167:168]
	v_add_f64_e32 v[96:97], v[96:97], v[94:95]
	v_fma_f64 v[94:95], v[209:210], s[14:15], -v[175:176]
	s_delay_alu instid0(VALU_DEP_3) | instskip(SKIP_1) | instid1(VALU_DEP_3)
	v_add_f64_e32 v[171:172], v[171:172], v[90:91]
	v_fma_f64 v[90:91], v[209:210], s[14:15], v[175:176]
	v_add_f64_e32 v[94:95], v[94:95], v[92:93]
	v_add_f64_e32 v[92:93], v[108:109], v[96:97]
	v_fma_f64 v[96:97], v[163:164], s[14:15], v[120:121]
	v_fma_f64 v[108:109], v[181:182], s[2:3], v[132:133]
	v_add_f64_e32 v[90:91], v[90:91], v[88:89]
	v_fma_f64 v[88:89], v[191:192], s[14:15], -v[177:178]
	v_fma_f64 v[120:121], v[163:164], s[14:15], -v[120:121]
	v_add_f64_e32 v[96:97], v[96:97], v[98:99]
	v_fma_f64 v[98:99], v[149:150], s[14:15], -v[122:123]
	v_fma_f64 v[122:123], v[149:150], s[14:15], v[122:123]
	v_add_f64_e32 v[88:89], v[88:89], v[171:172]
	v_add_f64_e32 v[120:121], v[120:121], v[142:143]
	;; [unrolled: 1-line block ×4, first 2 shown]
	v_mul_f64_e32 v[134:135], s[10:11], v[179:180]
	v_add_f64_e32 v[122:123], v[122:123], v[124:125]
	v_fma_f64 v[124:125], v[181:182], s[2:3], -v[132:133]
	v_fma_f64 v[132:133], v[191:192], s[20:21], v[215:216]
	s_delay_alu instid0(VALU_DEP_4) | instskip(NEXT) | instid1(VALU_DEP_3)
	v_fma_f64 v[108:109], v[159:160], s[2:3], -v[134:135]
	v_add_f64_e32 v[120:121], v[124:125], v[120:121]
	v_fma_f64 v[124:125], v[159:160], s[2:3], v[134:135]
	s_delay_alu instid0(VALU_DEP_3) | instskip(SKIP_2) | instid1(VALU_DEP_3)
	v_add_f64_e32 v[98:99], v[108:109], v[98:99]
	v_mul_f64_e32 v[108:109], s[34:35], v[153:154]
	s_mov_b32 s35, 0x3fcea1e5
	v_add_f64_e32 v[122:123], v[124:125], v[122:123]
	s_wait_alu 0xfffe
	v_mul_f64_e32 v[167:168], s[34:35], v[187:188]
	s_delay_alu instid0(VALU_DEP_3) | instskip(NEXT) | instid1(VALU_DEP_2)
	v_add_f64_e64 v[108:109], v[243:244], -v[108:109]
	v_fma_f64 v[171:172], v[199:200], s[28:29], v[167:168]
	v_fma_f64 v[124:125], v[199:200], s[28:29], -v[167:168]
	s_delay_alu instid0(VALU_DEP_3) | instskip(SKIP_1) | instid1(VALU_DEP_4)
	v_add_f64_e32 v[104:105], v[108:109], v[104:105]
	v_mul_f64_e32 v[108:109], s[2:3], v[183:184]
	v_add_f64_e32 v[96:97], v[171:172], v[96:97]
	v_mul_f64_e32 v[171:172], s[34:35], v[201:202]
	v_add_f64_e32 v[120:121], v[124:125], v[120:121]
	s_delay_alu instid0(VALU_DEP_4) | instskip(NEXT) | instid1(VALU_DEP_3)
	v_add_f64_e32 v[108:109], v[108:109], v[251:252]
	v_fma_f64 v[175:176], v[173:174], s[28:29], -v[171:172]
	v_fma_f64 v[124:125], v[173:174], s[28:29], v[171:172]
	s_delay_alu instid0(VALU_DEP_2) | instskip(SKIP_1) | instid1(VALU_DEP_3)
	v_add_f64_e32 v[98:99], v[175:176], v[98:99]
	v_mul_f64_e32 v[175:176], s[36:37], v[195:196]
	v_add_f64_e32 v[122:123], v[124:125], v[122:123]
	s_delay_alu instid0(VALU_DEP_2) | instskip(SKIP_1) | instid1(VALU_DEP_2)
	v_fma_f64 v[177:178], v[205:206], s[0:1], v[175:176]
	v_fma_f64 v[124:125], v[205:206], s[0:1], -v[175:176]
	v_add_f64_e32 v[96:97], v[177:178], v[96:97]
	v_mul_f64_e32 v[177:178], s[36:37], v[207:208]
	s_delay_alu instid0(VALU_DEP_3) | instskip(NEXT) | instid1(VALU_DEP_2)
	v_add_f64_e32 v[120:121], v[124:125], v[120:121]
	v_fma_f64 v[185:186], v[183:184], s[0:1], -v[177:178]
	v_fma_f64 v[124:125], v[183:184], s[0:1], v[177:178]
	s_delay_alu instid0(VALU_DEP_2) | instskip(SKIP_1) | instid1(VALU_DEP_3)
	v_add_f64_e32 v[185:186], v[185:186], v[98:99]
	v_fma_f64 v[98:99], v[209:210], s[20:21], v[189:190]
	v_add_f64_e32 v[124:125], v[124:125], v[122:123]
	v_fma_f64 v[122:123], v[209:210], s[20:21], -v[189:190]
	s_delay_alu instid0(VALU_DEP_3) | instskip(SKIP_1) | instid1(VALU_DEP_3)
	v_add_f64_e32 v[98:99], v[98:99], v[96:97]
	v_fma_f64 v[96:97], v[191:192], s[20:21], -v[215:216]
	v_add_f64_e32 v[122:123], v[122:123], v[120:121]
	v_add_f64_e32 v[120:121], v[132:133], v[124:125]
	s_delay_alu instid0(VALU_DEP_3) | instskip(SKIP_1) | instid1(VALU_DEP_1)
	v_add_f64_e32 v[96:97], v[96:97], v[185:186]
	v_mul_f64_e32 v[185:186], s[22:23], v[153:154]
	v_add_f64_e64 v[185:186], v[225:226], -v[185:186]
	v_mul_f64_e32 v[225:226], s[38:39], v[195:196]
	s_delay_alu instid0(VALU_DEP_2) | instskip(SKIP_1) | instid1(VALU_DEP_3)
	v_add_f64_e32 v[100:101], v[185:186], v[100:101]
	v_mul_f64_e32 v[185:186], s[14:15], v[183:184]
	v_add_f64_e64 v[225:226], v[239:240], -v[225:226]
	s_delay_alu instid0(VALU_DEP_3) | instskip(NEXT) | instid1(VALU_DEP_3)
	v_add_f64_e32 v[100:101], v[110:111], v[100:101]
	v_add_f64_e32 v[185:186], v[185:186], v[231:232]
	v_mul_f64_e32 v[110:111], s[36:37], v[213:214]
	s_delay_alu instid0(VALU_DEP_3) | instskip(NEXT) | instid1(VALU_DEP_3)
	v_add_f64_e32 v[100:101], v[221:222], v[100:101]
	v_add_f64_e32 v[185:186], v[185:186], v[102:103]
	s_delay_alu instid0(VALU_DEP_3) | instskip(SKIP_1) | instid1(VALU_DEP_4)
	v_add_f64_e64 v[110:111], v[241:242], -v[110:111]
	v_mul_f64_e32 v[221:222], s[10:11], v[195:196]
	v_add_f64_e32 v[100:101], v[225:226], v[100:101]
	s_delay_alu instid0(VALU_DEP_2) | instskip(NEXT) | instid1(VALU_DEP_2)
	v_add_f64_e64 v[161:162], v[161:162], -v[221:222]
	v_add_f64_e32 v[102:103], v[110:111], v[100:101]
	v_add_f64_e32 v[100:101], v[217:218], v[185:186]
	v_mul_f64_e32 v[110:111], s[40:41], v[169:170]
	v_mul_f64_e32 v[185:186], s[28:29], v[149:150]
	;; [unrolled: 1-line block ×3, first 2 shown]
	s_delay_alu instid0(VALU_DEP_3) | instskip(SKIP_1) | instid1(VALU_DEP_4)
	v_add_f64_e64 v[110:111], v[155:156], -v[110:111]
	v_mul_f64_e32 v[155:156], s[20:21], v[159:160]
	v_add_f64_e32 v[185:186], v[185:186], v[227:228]
	s_delay_alu instid0(VALU_DEP_4) | instskip(NEXT) | instid1(VALU_DEP_4)
	v_add_f64_e64 v[217:218], v[253:254], -v[217:218]
	v_add_f64_e32 v[104:105], v[110:111], v[104:105]
	s_delay_alu instid0(VALU_DEP_4) | instskip(NEXT) | instid1(VALU_DEP_4)
	v_add_f64_e32 v[155:156], v[155:156], v[247:248]
	v_add_f64_e32 v[106:107], v[185:186], v[106:107]
	v_mul_f64_e32 v[110:111], s[26:27], v[213:214]
	s_delay_alu instid0(VALU_DEP_4) | instskip(NEXT) | instid1(VALU_DEP_3)
	v_add_f64_e32 v[104:105], v[217:218], v[104:105]
	v_add_f64_e32 v[106:107], v[155:156], v[106:107]
	s_delay_alu instid0(VALU_DEP_3) | instskip(SKIP_1) | instid1(VALU_DEP_4)
	v_add_f64_e64 v[110:111], v[151:152], -v[110:111]
	v_mul_f64_e32 v[151:152], s[24:25], v[191:192]
	v_add_f64_e32 v[104:105], v[161:162], v[104:105]
	s_delay_alu instid0(VALU_DEP_4) | instskip(NEXT) | instid1(VALU_DEP_3)
	v_add_f64_e32 v[106:107], v[219:220], v[106:107]
	v_add_f64_e32 v[151:152], v[151:152], v[245:246]
	s_delay_alu instid0(VALU_DEP_2) | instskip(NEXT) | instid1(VALU_DEP_4)
	v_add_f64_e32 v[108:109], v[108:109], v[106:107]
	v_add_f64_e32 v[106:107], v[110:111], v[104:105]
	s_delay_alu instid0(VALU_DEP_2) | instskip(SKIP_1) | instid1(VALU_DEP_1)
	v_add_f64_e32 v[104:105], v[151:152], v[108:109]
	v_mul_f64_e32 v[151:152], s[30:31], v[153:154]
	v_fma_f64 v[108:109], v[163:164], s[24:25], -v[151:152]
	v_fma_f64 v[124:125], v[163:164], s[24:25], v[151:152]
	s_delay_alu instid0(VALU_DEP_2) | instskip(SKIP_1) | instid1(VALU_DEP_3)
	v_add_f64_e32 v[108:109], v[108:109], v[146:147]
	v_mul_f64_e32 v[146:147], s[30:31], v[157:158]
	v_add_f64_e32 v[124:125], v[124:125], v[144:145]
	s_delay_alu instid0(VALU_DEP_2)
	v_fma_f64 v[110:111], v[149:150], s[24:25], v[146:147]
	v_fma_f64 v[144:145], v[149:150], s[24:25], -v[146:147]
	scratch_load_b64 v[146:147], off, off offset:72 th:TH_LOAD_LU ; 8-byte Folded Reload
	v_add_f64_e32 v[110:111], v[110:111], v[126:127]
	v_mul_f64_e32 v[126:127], s[36:37], v[169:170]
	v_add_f64_e32 v[136:137], v[144:145], v[136:137]
	scratch_load_b64 v[144:145], off, off offset:32 th:TH_LOAD_LU ; 8-byte Folded Reload
	v_fma_f64 v[155:156], v[181:182], s[0:1], -v[126:127]
	v_fma_f64 v[126:127], v[181:182], s[0:1], v[126:127]
	s_delay_alu instid0(VALU_DEP_2) | instskip(SKIP_1) | instid1(VALU_DEP_3)
	v_add_f64_e32 v[108:109], v[155:156], v[108:109]
	v_mul_f64_e32 v[155:156], s[36:37], v[179:180]
	v_add_f64_e32 v[124:125], v[126:127], v[124:125]
	s_delay_alu instid0(VALU_DEP_2) | instskip(SKIP_1) | instid1(VALU_DEP_2)
	v_fma_f64 v[157:158], v[159:160], s[0:1], v[155:156]
	v_fma_f64 v[126:127], v[159:160], s[0:1], -v[155:156]
	v_add_f64_e32 v[110:111], v[157:158], v[110:111]
	v_mul_f64_e32 v[157:158], s[16:17], v[187:188]
	s_delay_alu instid0(VALU_DEP_3) | instskip(SKIP_3) | instid1(VALU_DEP_2)
	v_add_f64_e32 v[126:127], v[126:127], v[136:137]
	scratch_load_b64 v[136:137], off, off offset:16 th:TH_LOAD_LU ; 8-byte Folded Reload
	v_fma_f64 v[161:162], v[199:200], s[14:15], -v[157:158]
	v_fma_f64 v[132:133], v[199:200], s[14:15], v[157:158]
	v_add_f64_e32 v[108:109], v[161:162], v[108:109]
	v_mul_f64_e32 v[161:162], s[16:17], v[201:202]
	s_delay_alu instid0(VALU_DEP_3) | instskip(NEXT) | instid1(VALU_DEP_2)
	v_add_f64_e32 v[124:125], v[132:133], v[124:125]
	v_fma_f64 v[179:180], v[173:174], s[14:15], v[161:162]
	v_fma_f64 v[132:133], v[173:174], s[14:15], -v[161:162]
	s_delay_alu instid0(VALU_DEP_2) | instskip(SKIP_1) | instid1(VALU_DEP_3)
	v_add_f64_e32 v[110:111], v[179:180], v[110:111]
	v_mul_f64_e32 v[179:180], s[34:35], v[195:196]
	v_add_f64_e32 v[126:127], v[132:133], v[126:127]
	s_delay_alu instid0(VALU_DEP_2) | instskip(SKIP_1) | instid1(VALU_DEP_2)
	v_fma_f64 v[185:186], v[205:206], s[28:29], -v[179:180]
	v_fma_f64 v[134:135], v[205:206], s[28:29], v[179:180]
	v_add_f64_e32 v[108:109], v[185:186], v[108:109]
	v_mul_f64_e32 v[185:186], s[34:35], v[207:208]
	v_mul_f64_e32 v[207:208], s[18:19], v[213:214]
	s_delay_alu instid0(VALU_DEP_4) | instskip(SKIP_1) | instid1(VALU_DEP_4)
	v_add_f64_e32 v[124:125], v[134:135], v[124:125]
	v_fma_f64 v[134:135], v[191:192], s[2:3], -v[211:212]
	v_fma_f64 v[132:133], v[183:184], s[28:29], -v[185:186]
	s_delay_alu instid0(VALU_DEP_4) | instskip(SKIP_1) | instid1(VALU_DEP_3)
	v_fma_f64 v[142:143], v[209:210], s[2:3], v[207:208]
	v_fma_f64 v[201:202], v[183:184], s[28:29], v[185:186]
	v_add_f64_e32 v[132:133], v[132:133], v[126:127]
	s_delay_alu instid0(VALU_DEP_3)
	v_add_f64_e32 v[126:127], v[142:143], v[124:125]
	scratch_load_b64 v[142:143], off, off offset:40 th:TH_LOAD_LU ; 8-byte Folded Reload
	v_add_f64_e32 v[201:202], v[201:202], v[110:111]
	v_fma_f64 v[110:111], v[209:210], s[2:3], -v[207:208]
	v_add_f64_e32 v[124:125], v[134:135], v[132:133]
	scratch_load_b64 v[134:135], off, off offset:24 th:TH_LOAD_LU ; 8-byte Folded Reload
	v_mul_f64_e32 v[132:133], s[10:11], v[153:154]
	v_add_f64_e32 v[110:111], v[110:111], v[108:109]
	v_fma_f64 v[108:109], v[191:192], s[2:3], v[211:212]
	s_delay_alu instid0(VALU_DEP_1) | instskip(SKIP_1) | instid1(VALU_DEP_4)
	v_add_f64_e32 v[108:109], v[108:109], v[201:202]
	s_wait_loadcnt 0x0
	v_add_f64_e64 v[132:133], v[134:135], -v[132:133]
	v_mul_f64_e32 v[134:135], s[2:3], v[149:150]
	scratch_load_b64 v[149:150], off, off offset:48 th:TH_LOAD_LU ; 8-byte Folded Reload
	v_add_f64_e32 v[132:133], v[132:133], v[165:166]
	v_add_f64_e32 v[134:135], v[134:135], v[136:137]
	v_mul_f64_e32 v[136:137], s[16:17], v[169:170]
	s_delay_alu instid0(VALU_DEP_2) | instskip(NEXT) | instid1(VALU_DEP_2)
	v_add_f64_e32 v[134:135], v[134:135], v[138:139]
	v_add_f64_e64 v[136:137], v[142:143], -v[136:137]
	v_mul_f64_e32 v[142:143], s[14:15], v[159:160]
	v_mul_f64_e32 v[138:139], s[26:27], v[195:196]
	s_delay_alu instid0(VALU_DEP_3) | instskip(NEXT) | instid1(VALU_DEP_3)
	v_add_f64_e32 v[132:133], v[136:137], v[132:133]
	v_add_f64_e32 v[142:143], v[142:143], v[144:145]
	v_mul_f64_e32 v[144:145], s[22:23], v[187:188]
	v_mul_f64_e32 v[136:137], s[24:25], v[183:184]
	v_add_f64_e64 v[138:139], v[197:198], -v[138:139]
	s_delay_alu instid0(VALU_DEP_4) | instskip(SKIP_3) | instid1(VALU_DEP_2)
	v_add_f64_e32 v[134:135], v[142:143], v[134:135]
	scratch_load_b64 v[142:143], off, off offset:64 th:TH_LOAD_LU ; 8-byte Folded Reload
	v_add_f64_e64 v[144:145], v[146:147], -v[144:145]
	v_mul_f64_e32 v[146:147], s[20:21], v[173:174]
	v_add_f64_e32 v[132:133], v[144:145], v[132:133]
	s_delay_alu instid0(VALU_DEP_1) | instskip(SKIP_1) | instid1(VALU_DEP_3)
	v_add_f64_e32 v[132:133], v[138:139], v[132:133]
	s_wait_loadcnt 0x1
	v_add_f64_e32 v[146:147], v[146:147], v[149:150]
	s_delay_alu instid0(VALU_DEP_1) | instskip(SKIP_3) | instid1(VALU_DEP_2)
	v_add_f64_e32 v[134:135], v[146:147], v[134:135]
	s_wait_loadcnt 0x0
	v_add_f64_e32 v[136:137], v[136:137], v[142:143]
	v_mul_f64_e32 v[142:143], s[28:29], v[191:192]
	v_add_f64_e32 v[136:137], v[136:137], v[134:135]
	s_delay_alu instid0(VALU_DEP_2) | instskip(SKIP_1) | instid1(VALU_DEP_2)
	v_add_f64_e32 v[142:143], v[142:143], v[193:194]
	v_add_f64_e32 v[134:135], v[140:141], v[132:133]
	;; [unrolled: 1-line block ×3, first 2 shown]
	scratch_load_b32 v136, off, off offset:12 th:TH_LOAD_LU ; 4-byte Folded Reload
	s_wait_loadcnt 0x0
	v_and_b32_e32 v136, 0xffff, v136
	s_delay_alu instid0(VALU_DEP_1)
	v_lshlrev_b32_e32 v136, 4, v136
	ds_store_b128 v136, v[100:103] offset:32
	ds_store_b128 v136, v[104:107] offset:48
	;; [unrolled: 1-line block ×11, first 2 shown]
	ds_store_b128 v136, v[84:87]
	ds_store_b128 v136, v[112:115] offset:192
.LBB0_17:
	s_or_b32 exec_lo, exec_lo, s33
	global_wb scope:SCOPE_SE
	s_wait_dscnt 0x0
	s_barrier_signal -1
	s_barrier_wait -1
	global_inv scope:SCOPE_SE
	ds_load_b128 v[84:87], v255 offset:8112
	ds_load_b128 v[88:91], v255 offset:13520
	;; [unrolled: 1-line block ×6, first 2 shown]
	s_mov_b32 s10, 0x134454ff
	s_mov_b32 s11, 0xbfee6f0e
	;; [unrolled: 1-line block ×3, first 2 shown]
	s_wait_alu 0xfffe
	s_mov_b32 s0, s10
	s_mov_b32 s16, 0x4755a5e
	;; [unrolled: 1-line block ×4, first 2 shown]
	s_wait_alu 0xfffe
	s_mov_b32 s2, s16
	s_mov_b32 s14, 0x372fe950
	;; [unrolled: 1-line block ×7, first 2 shown]
	s_wait_alu 0xfffe
	s_mov_b32 s20, s14
	s_wait_dscnt 0x5
	v_mul_f64_e32 v[108:109], v[22:23], v[84:85]
	s_wait_dscnt 0x4
	v_mul_f64_e32 v[110:111], v[34:35], v[88:89]
	;; [unrolled: 2-line block ×5, first 2 shown]
	v_mul_f64_e32 v[22:23], v[22:23], v[86:87]
	v_mul_f64_e32 v[34:35], v[34:35], v[90:91]
	;; [unrolled: 1-line block ×4, first 2 shown]
	s_wait_dscnt 0x0
	v_mul_f64_e32 v[134:135], v[18:19], v[106:107]
	v_mul_f64_e32 v[18:19], v[18:19], v[104:105]
	;; [unrolled: 1-line block ×3, first 2 shown]
	s_mov_b32 s22, s18
	v_fma_f64 v[86:87], v[20:21], v[86:87], -v[108:109]
	v_fma_f64 v[90:91], v[32:33], v[90:91], -v[110:111]
	v_fma_f64 v[94:95], v[28:29], v[94:95], -v[120:121]
	v_fma_f64 v[98:99], v[36:37], v[98:99], -v[122:123]
	ds_load_b128 v[108:111], v255 offset:10816
	ds_load_b128 v[120:123], v255 offset:16224
	;; [unrolled: 1-line block ×3, first 2 shown]
	v_fma_f64 v[20:21], v[20:21], v[84:85], v[22:23]
	v_fma_f64 v[22:23], v[32:33], v[88:89], v[34:35]
	;; [unrolled: 1-line block ×4, first 2 shown]
	v_fma_f64 v[32:33], v[0:1], v[102:103], -v[132:133]
	v_fma_f64 v[38:39], v[16:17], v[104:105], v[134:135]
	v_fma_f64 v[16:17], v[16:17], v[106:107], -v[18:19]
	s_wait_dscnt 0x2
	v_mul_f64_e32 v[136:137], v[14:15], v[110:111]
	v_mul_f64_e32 v[14:15], v[14:15], v[108:109]
	s_wait_dscnt 0x1
	v_mul_f64_e32 v[138:139], v[10:11], v[122:123]
	s_wait_dscnt 0x0
	v_mul_f64_e32 v[140:141], v[6:7], v[126:127]
	v_mul_f64_e32 v[10:11], v[10:11], v[120:121]
	;; [unrolled: 1-line block ×3, first 2 shown]
	v_add_f64_e32 v[34:35], v[90:91], v[94:95]
	v_add_f64_e32 v[36:37], v[86:87], v[98:99]
	v_add_f64_e64 v[144:145], v[20:21], -v[22:23]
	v_add_f64_e64 v[96:97], v[22:23], -v[28:29]
	v_add_f64_e32 v[88:89], v[20:21], v[30:31]
	v_add_f64_e64 v[92:93], v[20:21], -v[30:31]
	v_add_f64_e64 v[146:147], v[30:31], -v[28:29]
	;; [unrolled: 1-line block ×3, first 2 shown]
	v_fma_f64 v[18:19], v[12:13], v[108:109], v[136:137]
	v_fma_f64 v[12:13], v[12:13], v[110:111], -v[14:15]
	v_fma_f64 v[14:15], v[8:9], v[120:121], v[138:139]
	v_fma_f64 v[84:85], v[4:5], v[124:125], v[140:141]
	v_fma_f64 v[8:9], v[8:9], v[122:123], -v[10:11]
	v_fma_f64 v[4:5], v[4:5], v[126:127], -v[6:7]
	v_fma_f64 v[6:7], v[0:1], v[100:101], v[2:3]
	v_add_f64_e32 v[10:11], v[22:23], v[28:29]
	v_add_f64_e64 v[108:109], v[86:87], -v[98:99]
	v_add_f64_e64 v[110:111], v[86:87], -v[90:91]
	;; [unrolled: 1-line block ×6, first 2 shown]
	ds_load_b128 v[0:3], v255
	global_wb scope:SCOPE_SE
	s_wait_dscnt 0x0
	s_barrier_signal -1
	s_barrier_wait -1
	v_fma_f64 v[34:35], v[34:35], -0.5, v[32:33]
	v_fma_f64 v[36:37], v[36:37], -0.5, v[32:33]
	v_add_f64_e32 v[32:33], v[32:33], v[86:87]
	global_inv scope:SCOPE_SE
	v_add_f64_e32 v[136:137], v[0:1], v[38:39]
	v_add_f64_e32 v[142:143], v[2:3], v[16:17]
	v_add_f64_e64 v[151:152], v[16:17], -v[12:13]
	v_add_f64_e32 v[100:101], v[18:19], v[14:15]
	v_add_f64_e32 v[102:103], v[38:39], v[84:85]
	;; [unrolled: 1-line block ×4, first 2 shown]
	v_fma_f64 v[88:89], v[88:89], -0.5, v[6:7]
	v_fma_f64 v[10:11], v[10:11], -0.5, v[6:7]
	v_add_f64_e64 v[138:139], v[16:17], -v[4:5]
	v_add_f64_e64 v[140:141], v[12:13], -v[8:9]
	v_add_f64_e32 v[6:7], v[6:7], v[20:21]
	v_add_f64_e64 v[20:21], v[22:23], -v[20:21]
	v_add_f64_e64 v[153:154], v[4:5], -v[8:9]
	;; [unrolled: 1-line block ×4, first 2 shown]
	v_fma_f64 v[132:133], v[92:93], s[0:1], v[34:35]
	v_fma_f64 v[134:135], v[96:97], s[10:11], v[36:37]
	;; [unrolled: 1-line block ×4, first 2 shown]
	v_add_f64_e32 v[32:33], v[32:33], v[90:91]
	v_add_f64_e32 v[12:13], v[142:143], v[12:13]
	v_fma_f64 v[86:87], v[100:101], -0.5, v[0:1]
	v_add_f64_e64 v[100:101], v[38:39], -v[84:85]
	v_fma_f64 v[0:1], v[102:103], -0.5, v[0:1]
	v_add_f64_e64 v[102:103], v[18:19], -v[14:15]
	v_fma_f64 v[104:105], v[104:105], -0.5, v[2:3]
	v_fma_f64 v[2:3], v[106:107], -0.5, v[2:3]
	v_add_f64_e32 v[106:107], v[110:111], v[120:121]
	v_add_f64_e32 v[110:111], v[122:123], v[124:125]
	v_fma_f64 v[120:121], v[108:109], s[10:11], v[10:11]
	v_fma_f64 v[10:11], v[108:109], s[0:1], v[10:11]
	;; [unrolled: 1-line block ×4, first 2 shown]
	v_add_f64_e32 v[6:7], v[6:7], v[22:23]
	v_add_f64_e32 v[22:23], v[144:145], v[146:147]
	;; [unrolled: 1-line block ×4, first 2 shown]
	v_fma_f64 v[124:125], v[96:97], s[2:3], v[132:133]
	v_fma_f64 v[132:133], v[92:93], s[2:3], v[134:135]
	;; [unrolled: 1-line block ×4, first 2 shown]
	v_add_f64_e64 v[92:93], v[38:39], -v[18:19]
	v_add_f64_e64 v[96:97], v[84:85], -v[14:15]
	;; [unrolled: 1-line block ×4, first 2 shown]
	v_add_f64_e32 v[18:19], v[136:137], v[18:19]
	v_add_f64_e32 v[8:9], v[12:13], v[8:9]
	;; [unrolled: 1-line block ×3, first 2 shown]
	v_fma_f64 v[90:91], v[138:139], s[10:11], v[86:87]
	v_fma_f64 v[86:87], v[138:139], s[0:1], v[86:87]
	;; [unrolled: 1-line block ×12, first 2 shown]
	v_add_f64_e32 v[6:7], v[6:7], v[28:29]
	v_fma_f64 v[108:109], v[106:107], s[14:15], v[124:125]
	v_fma_f64 v[124:125], v[110:111], s[14:15], v[132:133]
	;; [unrolled: 1-line block ×4, first 2 shown]
	v_add_f64_e32 v[92:93], v[92:93], v[96:97]
	v_add_f64_e32 v[96:97], v[151:152], v[153:154]
	;; [unrolled: 1-line block ×6, first 2 shown]
	v_fma_f64 v[18:19], v[140:141], s[16:17], v[90:91]
	v_fma_f64 v[28:29], v[140:141], s[2:3], v[86:87]
	;; [unrolled: 1-line block ×12, first 2 shown]
	v_add_f64_e32 v[6:7], v[6:7], v[30:31]
	v_mul_f64_e32 v[88:89], s[16:17], v[108:109]
	v_mul_f64_e32 v[102:103], s[10:11], v[124:125]
	;; [unrolled: 1-line block ×6, first 2 shown]
	s_wait_alu 0xfffe
	v_mul_f64_e32 v[36:37], s[20:21], v[36:37]
	v_mul_f64_e32 v[34:35], s[22:23], v[34:35]
	v_add_f64_e32 v[14:15], v[14:15], v[84:85]
	v_fma_f64 v[30:31], v[92:93], s[14:15], v[18:19]
	v_fma_f64 v[84:85], v[92:93], s[14:15], v[28:29]
	;; [unrolled: 1-line block ×8, first 2 shown]
	v_add_f64_e32 v[2:3], v[4:5], v[8:9]
	v_fma_f64 v[28:29], v[100:101], s[18:19], v[88:89]
	v_fma_f64 v[88:89], v[22:23], s[14:15], v[102:103]
	;; [unrolled: 1-line block ×8, first 2 shown]
	v_add_f64_e32 v[0:1], v[14:15], v[6:7]
	v_add_f64_e64 v[20:21], v[14:15], -v[6:7]
	v_add_f64_e64 v[22:23], v[4:5], -v[8:9]
	v_add_f64_e32 v[8:9], v[30:31], v[28:29]
	v_add_f64_e32 v[4:5], v[32:33], v[88:89]
	;; [unrolled: 1-line block ×8, first 2 shown]
	v_add_f64_e64 v[28:29], v[30:31], -v[28:29]
	v_add_f64_e64 v[36:37], v[32:33], -v[88:89]
	;; [unrolled: 1-line block ×8, first 2 shown]
	ds_store_b128 v148, v[0:3]
	ds_store_b128 v148, v[8:11] offset:208
	ds_store_b128 v148, v[4:7] offset:416
	;; [unrolled: 1-line block ×9, first 2 shown]
	global_wb scope:SCOPE_SE
	s_wait_dscnt 0x0
	s_barrier_signal -1
	s_barrier_wait -1
	global_inv scope:SCOPE_SE
	s_and_saveexec_b32 s0, vcc_lo
	s_cbranch_execz .LBB0_19
; %bb.18:
	ds_load_b128 v[0:3], v255
	ds_load_b128 v[8:11], v255 offset:2080
	ds_load_b128 v[4:7], v255 offset:4160
	;; [unrolled: 1-line block ×12, first 2 shown]
.LBB0_19:
	s_wait_alu 0xfffe
	s_or_b32 exec_lo, exec_lo, s0
	s_and_saveexec_b32 s33, vcc_lo
	s_cbranch_execz .LBB0_21
; %bb.20:
	s_wait_dscnt 0x6
	v_mul_f64_e32 v[88:89], v[78:79], v[30:31]
	s_wait_dscnt 0x5
	v_mul_f64_e32 v[90:91], v[82:83], v[38:39]
	v_mul_f64_e32 v[78:79], v[78:79], v[28:29]
	;; [unrolled: 1-line block ×7, first 2 shown]
	s_wait_dscnt 0x0
	v_mul_f64_e32 v[98:99], v[46:47], v[114:115]
	v_mul_f64_e32 v[102:103], v[46:47], v[112:113]
	;; [unrolled: 1-line block ×16, first 2 shown]
	s_mov_b32 s18, 0x4bc48dbf
	s_mov_b32 s19, 0xbfcea1e5
	;; [unrolled: 1-line block ×14, first 2 shown]
	v_fma_f64 v[42:43], v[76:77], v[28:29], v[88:89]
	v_fma_f64 v[28:29], v[80:81], v[36:37], v[90:91]
	v_fma_f64 v[36:37], v[76:77], v[30:31], -v[78:79]
	v_fma_f64 v[30:31], v[80:81], v[38:39], -v[82:83]
	v_fma_f64 v[38:39], v[72:73], v[20:21], v[92:93]
	v_fma_f64 v[46:47], v[72:73], v[22:23], -v[74:75]
	v_fma_f64 v[72:73], v[24:25], v[8:9], v[96:97]
	;; [unrolled: 2-line block ×4, first 2 shown]
	v_fma_f64 v[44:45], v[56:57], v[16:17], v[104:105]
	v_fma_f64 v[20:21], v[64:65], v[84:85], v[106:107]
	;; [unrolled: 1-line block ×4, first 2 shown]
	v_fma_f64 v[24:25], v[68:69], v[34:35], -v[70:71]
	v_fma_f64 v[50:51], v[56:57], v[18:19], -v[124:125]
	;; [unrolled: 1-line block ×5, first 2 shown]
	v_fma_f64 v[54:55], v[52:53], v[12:13], v[108:109]
	v_fma_f64 v[12:13], v[60:61], v[128:129], v[110:111]
	v_fma_f64 v[52:53], v[52:53], v[14:15], -v[126:127]
	v_fma_f64 v[14:15], v[60:61], v[130:131], -v[62:63]
	s_mov_b32 s16, 0xebaa3ed8
	s_mov_b32 s30, 0x2ef20147
	;; [unrolled: 1-line block ×9, first 2 shown]
	s_wait_alu 0xfffe
	s_mov_b32 s36, s18
	s_mov_b32 s34, s24
	;; [unrolled: 1-line block ×6, first 2 shown]
	v_add_f64_e64 v[16:17], v[42:43], -v[28:29]
	s_mov_b32 s11, 0x3fe22d96
	v_add_f64_e64 v[22:23], v[36:37], -v[30:31]
	s_mov_b32 s41, 0x3fe5384d
	s_mov_b32 s40, s22
	v_add_f64_e32 v[68:69], v[0:1], v[72:73]
	v_add_f64_e32 v[66:67], v[2:3], v[74:75]
	v_add_f64_e64 v[40:41], v[72:73], -v[8:9]
	v_add_f64_e64 v[48:49], v[74:75], -v[10:11]
	v_add_f64_e32 v[74:75], v[74:75], v[10:11]
	v_add_f64_e32 v[72:73], v[72:73], v[8:9]
	v_add_f64_e64 v[32:33], v[38:39], -v[26:27]
	v_add_f64_e64 v[60:61], v[44:45], -v[20:21]
	;; [unrolled: 1-line block ×3, first 2 shown]
	v_add_f64_e32 v[98:99], v[58:59], v[4:5]
	v_add_f64_e64 v[34:35], v[46:47], -v[24:25]
	v_add_f64_e64 v[70:71], v[50:51], -v[18:19]
	v_add_f64_e32 v[84:85], v[50:51], v[18:19]
	v_add_f64_e64 v[78:79], v[56:57], -v[6:7]
	v_add_f64_e32 v[88:89], v[56:57], v[6:7]
	;; [unrolled: 2-line block ×4, first 2 shown]
	v_add_f64_e32 v[94:95], v[44:45], v[20:21]
	v_add_f64_e32 v[92:93], v[38:39], v[26:27]
	;; [unrolled: 1-line block ×5, first 2 shown]
	s_mov_b32 s43, 0x3fedeba7
	s_mov_b32 s42, s30
	v_mul_f64_e32 v[186:187], s[28:29], v[16:17]
	v_mul_f64_e32 v[124:125], s[30:31], v[16:17]
	;; [unrolled: 1-line block ×5, first 2 shown]
	v_add_f64_e32 v[58:59], v[68:69], v[58:59]
	v_add_f64_e32 v[56:57], v[66:67], v[56:57]
	v_mul_f64_e32 v[102:103], s[18:19], v[40:41]
	v_mul_f64_e32 v[104:105], s[18:19], v[48:49]
	;; [unrolled: 1-line block ×9, first 2 shown]
	s_wait_alu 0xfffe
	v_mul_f64_e32 v[138:139], s[36:37], v[70:71]
	v_mul_f64_e32 v[180:181], s[38:39], v[40:41]
	;; [unrolled: 1-line block ×15, first 2 shown]
	s_mov_b32 s29, 0xbfddbe06
	v_mul_f64_e32 v[108:109], s[24:25], v[60:61]
	s_wait_alu 0xfffe
	v_mul_f64_e32 v[40:41], s[28:29], v[40:41]
	v_mul_f64_e32 v[66:67], s[24:25], v[70:71]
	v_mul_f64_e32 v[152:153], s[40:41], v[64:65]
	v_mul_f64_e32 v[162:163], s[40:41], v[78:79]
	v_mul_f64_e32 v[178:179], s[18:19], v[64:65]
	v_mul_f64_e32 v[192:193], s[30:31], v[64:65]
	v_mul_f64_e32 v[202:203], s[30:31], v[78:79]
	v_mul_f64_e32 v[128:129], s[36:37], v[60:61]
	v_mul_f64_e32 v[64:65], s[34:35], v[64:65]
	v_mul_f64_e32 v[106:107], s[30:31], v[32:33]
	v_add_f64_e32 v[54:55], v[58:59], v[54:55]
	v_add_f64_e32 v[52:53], v[56:57], v[52:53]
	v_fma_f64 v[170:171], v[74:75], s[20:21], v[102:103]
	v_fma_f64 v[102:103], v[74:75], s[20:21], -v[102:103]
	v_fma_f64 v[172:173], v[72:73], s[20:21], -v[104:105]
	v_fma_f64 v[104:105], v[72:73], s[20:21], v[104:105]
	v_fma_f64 v[174:175], v[74:75], s[2:3], v[110:111]
	v_fma_f64 v[176:177], v[72:73], s[2:3], -v[112:113]
	v_fma_f64 v[110:111], v[74:75], s[2:3], -v[110:111]
	v_fma_f64 v[206:207], v[88:89], s[0:1], v[116:117]
	v_fma_f64 v[116:117], v[88:89], s[0:1], -v[116:117]
	v_mul_f64_e32 v[58:59], s[38:39], v[48:49]
	v_fma_f64 v[210:211], v[88:89], s[16:17], v[132:133]
	v_fma_f64 v[208:209], v[98:99], s[0:1], -v[122:123]
	v_fma_f64 v[122:123], v[98:99], s[0:1], v[122:123]
	v_fma_f64 v[212:213], v[98:99], s[16:17], -v[142:143]
	v_fma_f64 v[112:113], v[72:73], s[2:3], v[112:113]
	v_mul_f64_e32 v[48:49], s[28:29], v[48:49]
	v_fma_f64 v[132:133], v[88:89], s[16:17], -v[132:133]
	v_fma_f64 v[216:217], v[86:87], s[2:3], v[114:115]
	v_fma_f64 v[114:115], v[86:87], s[2:3], -v[114:115]
	v_mul_f64_e32 v[56:57], s[18:19], v[78:79]
	v_fma_f64 v[224:225], v[96:97], s[2:3], -v[68:69]
	v_fma_f64 v[68:69], v[96:97], s[2:3], v[68:69]
	v_fma_f64 v[232:233], v[86:87], s[10:11], v[130:131]
	v_fma_f64 v[236:237], v[96:97], s[10:11], -v[140:141]
	v_fma_f64 v[142:143], v[98:99], s[16:17], v[142:143]
	v_fma_f64 v[246:247], v[74:75], s[10:11], v[194:195]
	v_fma_f64 v[248:249], v[72:73], s[10:11], -v[204:205]
	v_fma_f64 v[194:195], v[74:75], s[10:11], -v[194:195]
	v_fma_f64 v[204:205], v[72:73], s[10:11], v[204:205]
	v_fma_f64 v[238:239], v[74:75], s[14:15], v[154:155]
	v_mul_f64_e32 v[78:79], s[34:35], v[78:79]
	v_mul_f64_e32 v[120:121], s[30:31], v[34:35]
	v_mul_f64_e32 v[168:169], s[42:43], v[62:63]
	v_mul_f64_e32 v[184:185], s[42:43], v[76:77]
	v_mul_f64_e32 v[190:191], s[18:19], v[62:63]
	v_mul_f64_e32 v[200:201], s[18:19], v[76:77]
	v_add_f64_e32 v[44:45], v[54:55], v[44:45]
	v_add_f64_e32 v[50:51], v[52:53], v[50:51]
	;; [unrolled: 1-line block ×9, first 2 shown]
	v_fma_f64 v[54:55], v[84:85], s[10:11], v[108:109]
	v_fma_f64 v[108:109], v[84:85], s[10:11], -v[108:109]
	v_fma_f64 v[242:243], v[72:73], s[16:17], -v[58:59]
	v_fma_f64 v[58:59], v[72:73], s[16:17], v[58:59]
	v_fma_f64 v[222:223], v[94:95], s[10:11], -v[66:67]
	v_fma_f64 v[240:241], v[96:97], s[0:1], -v[160:161]
	;; [unrolled: 1-line block ×3, first 2 shown]
	v_add_f64_e32 v[112:113], v[0:1], v[112:113]
	v_fma_f64 v[66:67], v[94:95], s[10:11], v[66:67]
	v_fma_f64 v[230:231], v[84:85], s[20:21], v[128:129]
	v_mul_f64_e32 v[62:63], s[38:39], v[62:63]
	v_mul_f64_e32 v[76:77], s[38:39], v[76:77]
	v_fma_f64 v[52:53], v[82:83], s[14:15], v[106:107]
	v_fma_f64 v[106:107], v[82:83], s[14:15], -v[106:107]
	v_mul_f64_e32 v[148:149], s[38:39], v[60:61]
	v_mul_f64_e32 v[158:159], s[38:39], v[70:71]
	;; [unrolled: 1-line block ×4, first 2 shown]
	v_fma_f64 v[128:129], v[84:85], s[20:21], -v[128:129]
	v_mul_f64_e32 v[60:61], s[30:31], v[60:61]
	v_add_f64_e32 v[194:195], v[2:3], v[194:195]
	v_add_f64_e32 v[204:205], v[0:1], v[204:205]
	;; [unrolled: 1-line block ×3, first 2 shown]
	v_mul_f64_e32 v[70:71], s[30:31], v[70:71]
	v_fma_f64 v[220:221], v[92:93], s[14:15], -v[120:121]
	v_fma_f64 v[120:121], v[92:93], s[14:15], v[120:121]
	v_mul_f64_e32 v[146:147], s[36:37], v[32:33]
	v_mul_f64_e32 v[156:157], s[36:37], v[34:35]
	v_fma_f64 v[228:229], v[82:83], s[0:1], v[126:127]
	v_add_f64_e32 v[38:39], v[44:45], v[38:39]
	v_add_f64_e32 v[46:47], v[50:51], v[46:47]
	;; [unrolled: 1-line block ×8, first 2 shown]
	v_fma_f64 v[174:175], v[92:93], s[0:1], -v[136:137]
	v_fma_f64 v[176:177], v[94:95], s[20:21], -v[138:139]
	;; [unrolled: 1-line block ×3, first 2 shown]
	v_fma_f64 v[50:51], v[92:93], s[0:1], v[136:137]
	v_fma_f64 v[130:131], v[94:95], s[20:21], v[138:139]
	v_fma_f64 v[136:137], v[72:73], s[14:15], -v[164:165]
	v_fma_f64 v[138:139], v[96:97], s[10:11], v[140:141]
	v_fma_f64 v[140:141], v[74:75], s[14:15], -v[154:155]
	v_fma_f64 v[164:165], v[72:73], s[14:15], v[164:165]
	v_fma_f64 v[210:211], v[74:75], s[16:17], v[180:181]
	v_fma_f64 v[180:181], v[74:75], s[16:17], -v[180:181]
	v_add_f64_e32 v[110:111], v[132:133], v[110:111]
	v_fma_f64 v[132:133], v[74:75], s[0:1], v[40:41]
	v_fma_f64 v[40:41], v[74:75], s[0:1], -v[40:41]
	v_fma_f64 v[212:213], v[88:89], s[2:3], v[152:153]
	v_add_f64_e32 v[112:113], v[142:143], v[112:113]
	v_fma_f64 v[74:75], v[98:99], s[2:3], v[162:163]
	v_fma_f64 v[162:163], v[88:89], s[14:15], v[192:193]
	v_add_f64_e32 v[58:59], v[0:1], v[58:59]
	v_fma_f64 v[208:209], v[86:87], s[0:1], v[150:151]
	v_fma_f64 v[150:151], v[86:87], s[0:1], -v[150:151]
	v_fma_f64 v[206:207], v[84:85], s[16:17], v[148:149]
	v_fma_f64 v[126:127], v[82:83], s[0:1], -v[126:127]
	v_mul_f64_e32 v[100:101], s[26:27], v[16:17]
	v_mul_f64_e32 v[118:119], s[26:27], v[22:23]
	v_fma_f64 v[226:227], v[80:81], s[14:15], v[124:125]
	v_fma_f64 v[234:235], v[90:91], s[14:15], -v[134:135]
	v_fma_f64 v[154:155], v[82:83], s[20:21], v[146:147]
	v_add_f64_e32 v[38:39], v[38:39], v[42:43]
	v_add_f64_e32 v[36:37], v[46:47], v[36:37]
	v_fma_f64 v[42:43], v[72:73], s[0:1], v[48:49]
	v_add_f64_e32 v[102:103], v[114:115], v[102:103]
	v_fma_f64 v[46:47], v[72:73], s[0:1], -v[48:49]
	v_add_f64_e32 v[142:143], v[216:217], v[170:171]
	v_add_f64_e32 v[170:171], v[224:225], v[172:173]
	;; [unrolled: 1-line block ×5, first 2 shown]
	v_fma_f64 v[116:117], v[88:89], s[2:3], -v[152:153]
	v_fma_f64 v[122:123], v[96:97], s[0:1], v[160:161]
	v_fma_f64 v[48:49], v[88:89], s[20:21], v[178:179]
	v_add_f64_e32 v[72:73], v[0:1], v[136:137]
	v_fma_f64 v[136:137], v[98:99], s[20:21], -v[56:57]
	v_add_f64_e32 v[140:141], v[2:3], v[140:141]
	v_fma_f64 v[152:153], v[88:89], s[20:21], -v[178:179]
	v_add_f64_e32 v[160:161], v[0:1], v[164:165]
	v_fma_f64 v[56:57], v[98:99], s[20:21], v[56:57]
	v_add_f64_e32 v[164:165], v[2:3], v[210:211]
	v_fma_f64 v[172:173], v[98:99], s[14:15], -v[202:203]
	v_fma_f64 v[178:179], v[88:89], s[14:15], -v[192:193]
	v_add_f64_e32 v[192:193], v[0:1], v[242:243]
	v_fma_f64 v[202:203], v[98:99], s[14:15], v[202:203]
	v_add_f64_e32 v[180:181], v[2:3], v[180:181]
	v_add_f64_e32 v[216:217], v[2:3], v[246:247]
	;; [unrolled: 1-line block ×3, first 2 shown]
	v_fma_f64 v[210:211], v[88:89], s[10:11], v[64:65]
	v_add_f64_e32 v[132:133], v[2:3], v[132:133]
	v_fma_f64 v[64:65], v[88:89], s[10:11], -v[64:65]
	v_add_f64_e32 v[2:3], v[2:3], v[40:41]
	v_fma_f64 v[40:41], v[98:99], s[10:11], v[78:79]
	v_add_f64_e32 v[44:45], v[44:45], v[110:111]
	v_add_f64_e32 v[110:111], v[138:139], v[112:113]
	v_fma_f64 v[88:89], v[96:97], s[14:15], v[184:185]
	v_fma_f64 v[138:139], v[96:97], s[20:21], v[200:201]
	v_add_f64_e32 v[212:213], v[212:213], v[238:239]
	v_fma_f64 v[214:215], v[80:81], s[16:17], v[100:101]
	v_add_f64_e32 v[28:29], v[38:39], v[28:29]
	v_add_f64_e32 v[30:31], v[36:37], v[30:31]
	;; [unrolled: 1-line block ×4, first 2 shown]
	v_fma_f64 v[108:109], v[98:99], s[10:11], -v[78:79]
	v_add_f64_e32 v[0:1], v[0:1], v[46:47]
	v_add_f64_e32 v[54:55], v[54:55], v[142:143]
	;; [unrolled: 1-line block ×3, first 2 shown]
	v_fma_f64 v[38:39], v[86:87], s[14:15], v[168:169]
	v_fma_f64 v[46:47], v[96:97], s[14:15], -v[184:185]
	v_fma_f64 v[78:79], v[86:87], s[14:15], -v[168:169]
	v_fma_f64 v[98:99], v[86:87], s[20:21], v[190:191]
	v_add_f64_e32 v[66:67], v[66:67], v[68:69]
	v_add_f64_e32 v[42:43], v[244:245], v[72:73]
	;; [unrolled: 1-line block ×4, first 2 shown]
	v_fma_f64 v[116:117], v[86:87], s[20:21], -v[190:191]
	v_add_f64_e32 v[74:75], v[74:75], v[160:161]
	v_add_f64_e32 v[56:57], v[56:57], v[58:59]
	;; [unrolled: 1-line block ×6, first 2 shown]
	v_fma_f64 v[114:115], v[96:97], s[20:21], -v[200:201]
	v_add_f64_e32 v[140:141], v[152:153], v[180:181]
	v_add_f64_e32 v[58:59], v[162:163], v[216:217]
	;; [unrolled: 1-line block ×4, first 2 shown]
	v_fma_f64 v[142:143], v[86:87], s[16:17], v[62:63]
	v_fma_f64 v[62:63], v[86:87], s[16:17], -v[62:63]
	v_add_f64_e32 v[2:3], v[64:65], v[2:3]
	v_fma_f64 v[64:65], v[96:97], s[16:17], v[76:77]
	v_add_f64_e32 v[132:133], v[210:211], v[132:133]
	v_add_f64_e32 v[44:45], v[128:129], v[44:45]
	;; [unrolled: 1-line block ×3, first 2 shown]
	v_fma_f64 v[86:87], v[84:85], s[0:1], v[166:167]
	v_fma_f64 v[128:129], v[84:85], s[2:3], -v[188:189]
	v_fma_f64 v[130:131], v[94:95], s[2:3], v[198:199]
	v_add_f64_e32 v[26:27], v[28:29], v[26:27]
	v_add_f64_e32 v[24:25], v[30:31], v[24:25]
	;; [unrolled: 1-line block ×4, first 2 shown]
	v_fma_f64 v[106:107], v[96:97], s[16:17], -v[76:77]
	v_add_f64_e32 v[0:1], v[108:109], v[0:1]
	v_add_f64_e32 v[52:53], v[52:53], v[54:55]
	;; [unrolled: 1-line block ×3, first 2 shown]
	v_fma_f64 v[30:31], v[94:95], s[16:17], -v[158:159]
	v_fma_f64 v[40:41], v[84:85], s[16:17], -v[148:149]
	v_mul_f64_e32 v[76:77], s[34:35], v[32:33]
	v_fma_f64 v[96:97], v[94:95], s[0:1], -v[182:183]
	v_fma_f64 v[108:109], v[84:85], s[0:1], -v[166:167]
	v_add_f64_e32 v[36:37], v[240:241], v[42:43]
	v_fma_f64 v[112:113], v[94:95], s[0:1], v[182:183]
	v_add_f64_e32 v[42:43], v[150:151], v[72:73]
	v_fma_f64 v[72:73], v[94:95], s[16:17], v[158:159]
	v_add_f64_e32 v[74:75], v[122:123], v[74:75]
	v_add_f64_e32 v[56:57], v[88:89], v[56:57]
	;; [unrolled: 1-line block ×3, first 2 shown]
	v_mul_f64_e32 v[48:49], s[34:35], v[34:35]
	v_mul_f64_e32 v[88:89], s[26:27], v[32:33]
	v_add_f64_e32 v[46:47], v[46:47], v[136:137]
	v_add_f64_e32 v[116:117], v[116:117], v[160:161]
	;; [unrolled: 1-line block ×4, first 2 shown]
	v_mul_f64_e32 v[98:99], s[26:27], v[34:35]
	v_add_f64_e32 v[136:137], v[138:139], v[162:163]
	v_add_f64_e32 v[164:165], v[208:209], v[212:213]
	;; [unrolled: 1-line block ×3, first 2 shown]
	v_fma_f64 v[120:121], v[84:85], s[2:3], v[188:189]
	v_fma_f64 v[122:123], v[94:95], s[2:3], -v[198:199]
	v_add_f64_e32 v[114:115], v[114:115], v[152:153]
	v_mul_f64_e32 v[32:33], s[22:23], v[32:33]
	v_fma_f64 v[138:139], v[84:85], s[14:15], v[60:61]
	v_mul_f64_e32 v[34:35], s[22:23], v[34:35]
	v_fma_f64 v[60:61], v[84:85], s[14:15], -v[60:61]
	v_add_f64_e32 v[2:3], v[62:63], v[2:3]
	v_add_f64_e32 v[20:21], v[26:27], v[20:21]
	;; [unrolled: 1-line block ×3, first 2 shown]
	v_fma_f64 v[62:63], v[94:95], s[14:15], v[70:71]
	v_add_f64_e32 v[24:25], v[64:65], v[28:29]
	v_add_f64_e32 v[132:133], v[142:143], v[132:133]
	v_fma_f64 v[140:141], v[94:95], s[14:15], -v[70:71]
	v_add_f64_e32 v[0:1], v[106:107], v[0:1]
	v_mul_f64_e32 v[28:29], s[24:25], v[22:23]
	v_mul_f64_e32 v[84:85], s[22:23], v[22:23]
	v_fma_f64 v[64:65], v[92:93], s[20:21], -v[156:157]
	v_mul_f64_e32 v[22:23], s[18:19], v[22:23]
	v_add_f64_e32 v[50:51], v[50:51], v[110:111]
	v_fma_f64 v[218:219], v[90:91], s[16:17], -v[118:119]
	v_add_f64_e32 v[30:31], v[30:31], v[36:37]
	v_fma_f64 v[36:37], v[82:83], s[20:21], -v[146:147]
	v_add_f64_e32 v[40:41], v[40:41], v[42:43]
	v_fma_f64 v[42:43], v[92:93], s[20:21], v[156:157]
	v_add_f64_e32 v[70:71], v[72:73], v[74:75]
	v_mul_f64_e32 v[72:73], s[22:23], v[16:17]
	v_fma_f64 v[74:75], v[82:83], s[10:11], v[76:77]
	v_add_f64_e32 v[38:39], v[86:87], v[38:39]
	v_fma_f64 v[86:87], v[92:93], s[10:11], -v[48:49]
	v_add_f64_e32 v[46:47], v[96:97], v[46:47]
	v_fma_f64 v[76:77], v[82:83], s[10:11], -v[76:77]
	v_add_f64_e32 v[78:79], v[108:109], v[78:79]
	v_add_f64_e32 v[56:57], v[112:113], v[56:57]
	v_fma_f64 v[94:95], v[82:83], s[16:17], v[88:89]
	v_fma_f64 v[96:97], v[92:93], s[16:17], -v[98:99]
	v_fma_f64 v[88:89], v[82:83], s[16:17], -v[88:89]
	v_add_f64_e32 v[108:109], v[128:129], v[116:117]
	v_fma_f64 v[98:99], v[92:93], s[16:17], v[98:99]
	v_add_f64_e32 v[112:113], v[130:131], v[136:137]
	v_fma_f64 v[48:49], v[92:93], s[10:11], v[48:49]
	v_add_f64_e32 v[26:27], v[206:207], v[164:165]
	v_add_f64_e32 v[58:59], v[120:121], v[58:59]
	;; [unrolled: 1-line block ×3, first 2 shown]
	v_mul_f64_e32 v[16:17], s[18:19], v[16:17]
	v_fma_f64 v[114:115], v[82:83], s[2:3], v[32:33]
	v_add_f64_e32 v[12:13], v[20:21], v[12:13]
	v_add_f64_e32 v[14:15], v[18:19], v[14:15]
	v_fma_f64 v[120:121], v[92:93], s[2:3], -v[34:35]
	v_fma_f64 v[32:33], v[82:83], s[2:3], -v[32:33]
	v_add_f64_e32 v[2:3], v[60:61], v[2:3]
	v_fma_f64 v[34:35], v[92:93], s[2:3], v[34:35]
	v_add_f64_e32 v[18:19], v[62:63], v[24:25]
	v_add_f64_e32 v[116:117], v[138:139], v[132:133]
	;; [unrolled: 1-line block ×3, first 2 shown]
	v_fma_f64 v[62:63], v[90:91], s[10:11], -v[28:29]
	v_fma_f64 v[20:21], v[80:81], s[14:15], -v[124:125]
	v_add_f64_e32 v[24:25], v[126:127], v[44:45]
	v_fma_f64 v[60:61], v[80:81], s[10:11], v[144:145]
	v_add_f64_e32 v[30:31], v[64:65], v[30:31]
	v_fma_f64 v[64:65], v[80:81], s[10:11], -v[144:145]
	v_add_f64_e32 v[36:37], v[36:37], v[40:41]
	v_fma_f64 v[40:41], v[90:91], s[10:11], v[28:29]
	v_add_f64_e32 v[42:43], v[42:43], v[70:71]
	v_fma_f64 v[70:71], v[80:81], s[2:3], v[72:73]
	v_fma_f64 v[28:29], v[80:81], s[2:3], -v[72:73]
	v_add_f64_e32 v[38:39], v[74:75], v[38:39]
	v_fma_f64 v[74:75], v[90:91], s[2:3], -v[84:85]
	v_add_f64_e32 v[46:47], v[86:87], v[46:47]
	v_fma_f64 v[44:45], v[90:91], s[14:15], v[134:135]
	v_add_f64_e32 v[72:73], v[76:77], v[78:79]
	v_fma_f64 v[76:77], v[90:91], s[2:3], v[84:85]
	v_fma_f64 v[78:79], v[80:81], s[0:1], -v[186:187]
	v_fma_f64 v[84:85], v[90:91], s[0:1], v[196:197]
	v_fma_f64 v[100:101], v[80:81], s[16:17], -v[100:101]
	v_add_f64_e32 v[82:83], v[88:89], v[108:109]
	v_fma_f64 v[118:119], v[90:91], s[16:17], v[118:119]
	v_add_f64_e32 v[86:87], v[98:99], v[112:113]
	v_add_f64_e32 v[48:49], v[48:49], v[56:57]
	;; [unrolled: 1-line block ×5, first 2 shown]
	v_fma_f64 v[56:57], v[80:81], s[0:1], v[186:187]
	v_add_f64_e32 v[58:59], v[94:95], v[58:59]
	v_fma_f64 v[88:89], v[90:91], s[0:1], -v[196:197]
	v_add_f64_e32 v[92:93], v[96:97], v[106:107]
	v_add_f64_e32 v[108:109], v[14:15], v[6:7]
	;; [unrolled: 1-line block ×3, first 2 shown]
	v_fma_f64 v[94:95], v[80:81], s[20:21], v[16:17]
	v_fma_f64 v[98:99], v[90:91], s[20:21], -v[22:23]
	v_fma_f64 v[80:81], v[80:81], s[20:21], -v[16:17]
	v_add_f64_e32 v[106:107], v[32:33], v[2:3]
	v_fma_f64 v[90:91], v[90:91], s[20:21], v[22:23]
	v_add_f64_e32 v[112:113], v[34:35], v[18:19]
	v_add_f64_e32 v[96:97], v[114:115], v[116:117]
	;; [unrolled: 1-line block ×29, first 2 shown]
	ds_store_b128 v255, v[32:35] offset:4160
	ds_store_b128 v255, v[28:31] offset:6240
	;; [unrolled: 1-line block ×10, first 2 shown]
	ds_store_b128 v255, v[8:11]
	ds_store_b128 v255, v[48:51] offset:2080
	ds_store_b128 v255, v[44:47] offset:24960
.LBB0_21:
	s_or_b32 exec_lo, exec_lo, s33
	global_wb scope:SCOPE_SE
	s_wait_dscnt 0x0
	s_barrier_signal -1
	s_barrier_wait -1
	global_inv scope:SCOPE_SE
	s_and_b32 exec_lo, exec_lo, vcc_lo
	s_cbranch_execz .LBB0_23
; %bb.22:
	s_clause 0xb
	global_load_b128 v[0:3], v255, s[8:9]
	global_load_b128 v[4:7], v255, s[8:9] offset:2080
	global_load_b128 v[8:11], v255, s[8:9] offset:4160
	;; [unrolled: 1-line block ×11, first 2 shown]
	s_clause 0x1
	scratch_load_b64 v[48:49], off, off offset:4 th:TH_LOAD_LU
	scratch_load_b32 v65, off, off th:TH_LOAD_LU
	s_mul_u64 s[0:1], s[4:5], 0x820
	s_mov_b32 s2, 0x622898b1
	s_mov_b32 s3, 0x3f4363ac
	s_wait_loadcnt 0x1
	v_mov_b32_e32 v49, v48
	s_wait_loadcnt 0x0
	v_mad_co_u64_u32 v[100:101], null, s4, v65, 0
	s_delay_alu instid0(VALU_DEP_2) | instskip(NEXT) | instid1(VALU_DEP_1)
	v_mad_co_u64_u32 v[88:89], null, s6, v49, 0
	v_mov_b32_e32 v48, v89
	s_delay_alu instid0(VALU_DEP_1) | instskip(NEXT) | instid1(VALU_DEP_4)
	v_mad_co_u64_u32 v[72:73], null, s7, v49, v[48:49]
	v_mov_b32_e32 v64, v101
	ds_load_b128 v[48:51], v255
	ds_load_b128 v[52:55], v255 offset:2080
	ds_load_b128 v[56:59], v255 offset:4160
	ds_load_b128 v[60:63], v255 offset:6240
	v_mov_b32_e32 v89, v72
	v_mad_co_u64_u32 v[90:91], null, s5, v65, v[64:65]
	ds_load_b128 v[64:67], v255 offset:8320
	ds_load_b128 v[68:71], v255 offset:10400
	;; [unrolled: 1-line block ×6, first 2 shown]
	v_lshlrev_b64_e32 v[102:103], 4, v[88:89]
	v_mov_b32_e32 v101, v90
	ds_load_b128 v[88:91], v255 offset:20800
	ds_load_b128 v[92:95], v255 offset:22880
	;; [unrolled: 1-line block ×3, first 2 shown]
	v_add_co_u32 v126, vcc_lo, s12, v102
	s_wait_alu 0xfffd
	v_add_co_ci_u32_e32 v127, vcc_lo, s13, v103, vcc_lo
	s_wait_dscnt 0xc
	v_mul_f64_e32 v[102:103], v[50:51], v[2:3]
	v_mul_f64_e32 v[2:3], v[48:49], v[2:3]
	s_wait_dscnt 0xb
	v_mul_f64_e32 v[104:105], v[54:55], v[6:7]
	v_mul_f64_e32 v[6:7], v[52:53], v[6:7]
	;; [unrolled: 3-line block ×12, first 2 shown]
	v_lshlrev_b64_e32 v[100:101], 4, v[100:101]
	s_delay_alu instid0(VALU_DEP_1) | instskip(SKIP_1) | instid1(VALU_DEP_2)
	v_add_co_u32 v100, vcc_lo, v126, v100
	s_wait_alu 0xfffd
	v_add_co_ci_u32_e32 v101, vcc_lo, v127, v101, vcc_lo
	s_wait_alu 0xfffe
	s_delay_alu instid0(VALU_DEP_2) | instskip(SKIP_1) | instid1(VALU_DEP_2)
	v_add_co_u32 v126, vcc_lo, v100, s0
	s_wait_alu 0xfffd
	v_add_co_ci_u32_e32 v127, vcc_lo, s1, v101, vcc_lo
	v_fma_f64 v[48:49], v[48:49], v[0:1], v[102:103]
	v_fma_f64 v[2:3], v[0:1], v[50:51], -v[2:3]
	v_fma_f64 v[50:51], v[52:53], v[4:5], v[104:105]
	v_fma_f64 v[6:7], v[4:5], v[54:55], -v[6:7]
	;; [unrolled: 2-line block ×12, first 2 shown]
	v_add_co_u32 v128, vcc_lo, v126, s0
	s_wait_alu 0xfffd
	v_add_co_ci_u32_e32 v129, vcc_lo, s1, v127, vcc_lo
	s_delay_alu instid0(VALU_DEP_2) | instskip(SKIP_1) | instid1(VALU_DEP_2)
	v_add_co_u32 v72, vcc_lo, v128, s0
	s_wait_alu 0xfffd
	v_add_co_ci_u32_e32 v73, vcc_lo, s1, v129, vcc_lo
	s_delay_alu instid0(VALU_DEP_2) | instskip(SKIP_1) | instid1(VALU_DEP_2)
	v_add_co_u32 v74, vcc_lo, v72, s0
	s_wait_alu 0xfffd
	v_add_co_ci_u32_e32 v75, vcc_lo, s1, v73, vcc_lo
	v_mul_f64_e32 v[0:1], s[2:3], v[48:49]
	v_mul_f64_e32 v[2:3], s[2:3], v[2:3]
	;; [unrolled: 1-line block ×12, first 2 shown]
	v_add_co_u32 v76, vcc_lo, v74, s0
	v_mul_f64_e32 v[24:25], s[2:3], v[60:61]
	v_mul_f64_e32 v[26:27], s[2:3], v[26:27]
	;; [unrolled: 1-line block ×4, first 2 shown]
	s_wait_alu 0xfffd
	v_add_co_ci_u32_e32 v77, vcc_lo, s1, v75, vcc_lo
	v_mul_f64_e32 v[32:33], s[2:3], v[64:65]
	v_mul_f64_e32 v[34:35], s[2:3], v[34:35]
	v_mul_f64_e32 v[36:37], s[2:3], v[66:67]
	v_mul_f64_e32 v[38:39], s[2:3], v[38:39]
	v_mul_f64_e32 v[40:41], s[2:3], v[68:69]
	v_mul_f64_e32 v[42:43], s[2:3], v[42:43]
	v_mul_f64_e32 v[44:45], s[2:3], v[70:71]
	v_mul_f64_e32 v[46:47], s[2:3], v[46:47]
	v_add_co_u32 v48, vcc_lo, v76, s0
	s_wait_alu 0xfffd
	v_add_co_ci_u32_e32 v49, vcc_lo, s1, v77, vcc_lo
	s_delay_alu instid0(VALU_DEP_2) | instskip(SKIP_1) | instid1(VALU_DEP_2)
	v_add_co_u32 v50, vcc_lo, v48, s0
	s_wait_alu 0xfffd
	v_add_co_ci_u32_e32 v51, vcc_lo, s1, v49, vcc_lo
	s_delay_alu instid0(VALU_DEP_2) | instskip(SKIP_1) | instid1(VALU_DEP_2)
	;; [unrolled: 4-line block ×5, first 2 shown]
	v_add_co_u32 v58, vcc_lo, v56, s0
	s_wait_alu 0xfffd
	v_add_co_ci_u32_e32 v59, vcc_lo, s1, v57, vcc_lo
	s_clause 0x4
	global_store_b128 v[100:101], v[0:3], off
	global_store_b128 v[126:127], v[4:7], off
	;; [unrolled: 1-line block ×12, first 2 shown]
	global_load_b128 v[0:3], v255, s[8:9] offset:24960
	s_wait_loadcnt_dscnt 0x0
	v_mul_f64_e32 v[4:5], v[98:99], v[2:3]
	v_mul_f64_e32 v[2:3], v[96:97], v[2:3]
	s_delay_alu instid0(VALU_DEP_2) | instskip(NEXT) | instid1(VALU_DEP_2)
	v_fma_f64 v[4:5], v[96:97], v[0:1], v[4:5]
	v_fma_f64 v[2:3], v[0:1], v[98:99], -v[2:3]
	s_delay_alu instid0(VALU_DEP_2) | instskip(NEXT) | instid1(VALU_DEP_2)
	v_mul_f64_e32 v[0:1], s[2:3], v[4:5]
	v_mul_f64_e32 v[2:3], s[2:3], v[2:3]
	v_add_co_u32 v4, vcc_lo, v58, s0
	s_wait_alu 0xfffd
	v_add_co_ci_u32_e32 v5, vcc_lo, s1, v59, vcc_lo
	global_store_b128 v[4:5], v[0:3], off
.LBB0_23:
	s_endpgm
	.section	.rodata,"a",@progbits
	.p2align	6, 0x0
	.amdhsa_kernel bluestein_single_back_len1690_dim1_dp_op_CI_CI
		.amdhsa_group_segment_fixed_size 27040
		.amdhsa_private_segment_fixed_size 84
		.amdhsa_kernarg_size 104
		.amdhsa_user_sgpr_count 2
		.amdhsa_user_sgpr_dispatch_ptr 0
		.amdhsa_user_sgpr_queue_ptr 0
		.amdhsa_user_sgpr_kernarg_segment_ptr 1
		.amdhsa_user_sgpr_dispatch_id 0
		.amdhsa_user_sgpr_private_segment_size 0
		.amdhsa_wavefront_size32 1
		.amdhsa_uses_dynamic_stack 0
		.amdhsa_enable_private_segment 1
		.amdhsa_system_sgpr_workgroup_id_x 1
		.amdhsa_system_sgpr_workgroup_id_y 0
		.amdhsa_system_sgpr_workgroup_id_z 0
		.amdhsa_system_sgpr_workgroup_info 0
		.amdhsa_system_vgpr_workitem_id 0
		.amdhsa_next_free_vgpr 256
		.amdhsa_next_free_sgpr 46
		.amdhsa_reserve_vcc 1
		.amdhsa_float_round_mode_32 0
		.amdhsa_float_round_mode_16_64 0
		.amdhsa_float_denorm_mode_32 3
		.amdhsa_float_denorm_mode_16_64 3
		.amdhsa_fp16_overflow 0
		.amdhsa_workgroup_processor_mode 1
		.amdhsa_memory_ordered 1
		.amdhsa_forward_progress 0
		.amdhsa_round_robin_scheduling 0
		.amdhsa_exception_fp_ieee_invalid_op 0
		.amdhsa_exception_fp_denorm_src 0
		.amdhsa_exception_fp_ieee_div_zero 0
		.amdhsa_exception_fp_ieee_overflow 0
		.amdhsa_exception_fp_ieee_underflow 0
		.amdhsa_exception_fp_ieee_inexact 0
		.amdhsa_exception_int_div_zero 0
	.end_amdhsa_kernel
	.text
.Lfunc_end0:
	.size	bluestein_single_back_len1690_dim1_dp_op_CI_CI, .Lfunc_end0-bluestein_single_back_len1690_dim1_dp_op_CI_CI
                                        ; -- End function
	.section	.AMDGPU.csdata,"",@progbits
; Kernel info:
; codeLenInByte = 20292
; NumSgprs: 48
; NumVgprs: 256
; ScratchSize: 84
; MemoryBound: 0
; FloatMode: 240
; IeeeMode: 1
; LDSByteSize: 27040 bytes/workgroup (compile time only)
; SGPRBlocks: 5
; VGPRBlocks: 31
; NumSGPRsForWavesPerEU: 48
; NumVGPRsForWavesPerEU: 256
; Occupancy: 5
; WaveLimiterHint : 1
; COMPUTE_PGM_RSRC2:SCRATCH_EN: 1
; COMPUTE_PGM_RSRC2:USER_SGPR: 2
; COMPUTE_PGM_RSRC2:TRAP_HANDLER: 0
; COMPUTE_PGM_RSRC2:TGID_X_EN: 1
; COMPUTE_PGM_RSRC2:TGID_Y_EN: 0
; COMPUTE_PGM_RSRC2:TGID_Z_EN: 0
; COMPUTE_PGM_RSRC2:TIDIG_COMP_CNT: 0
	.text
	.p2alignl 7, 3214868480
	.fill 96, 4, 3214868480
	.type	__hip_cuid_e60c619987df274f,@object ; @__hip_cuid_e60c619987df274f
	.section	.bss,"aw",@nobits
	.globl	__hip_cuid_e60c619987df274f
__hip_cuid_e60c619987df274f:
	.byte	0                               ; 0x0
	.size	__hip_cuid_e60c619987df274f, 1

	.ident	"AMD clang version 19.0.0git (https://github.com/RadeonOpenCompute/llvm-project roc-6.4.0 25133 c7fe45cf4b819c5991fe208aaa96edf142730f1d)"
	.section	".note.GNU-stack","",@progbits
	.addrsig
	.addrsig_sym __hip_cuid_e60c619987df274f
	.amdgpu_metadata
---
amdhsa.kernels:
  - .args:
      - .actual_access:  read_only
        .address_space:  global
        .offset:         0
        .size:           8
        .value_kind:     global_buffer
      - .actual_access:  read_only
        .address_space:  global
        .offset:         8
        .size:           8
        .value_kind:     global_buffer
      - .actual_access:  read_only
        .address_space:  global
        .offset:         16
        .size:           8
        .value_kind:     global_buffer
      - .actual_access:  read_only
        .address_space:  global
        .offset:         24
        .size:           8
        .value_kind:     global_buffer
      - .actual_access:  read_only
        .address_space:  global
        .offset:         32
        .size:           8
        .value_kind:     global_buffer
      - .offset:         40
        .size:           8
        .value_kind:     by_value
      - .address_space:  global
        .offset:         48
        .size:           8
        .value_kind:     global_buffer
      - .address_space:  global
        .offset:         56
        .size:           8
        .value_kind:     global_buffer
      - .address_space:  global
        .offset:         64
        .size:           8
        .value_kind:     global_buffer
      - .address_space:  global
        .offset:         72
        .size:           8
        .value_kind:     global_buffer
      - .offset:         80
        .size:           4
        .value_kind:     by_value
      - .address_space:  global
        .offset:         88
        .size:           8
        .value_kind:     global_buffer
      - .address_space:  global
        .offset:         96
        .size:           8
        .value_kind:     global_buffer
    .group_segment_fixed_size: 27040
    .kernarg_segment_align: 8
    .kernarg_segment_size: 104
    .language:       OpenCL C
    .language_version:
      - 2
      - 0
    .max_flat_workgroup_size: 169
    .name:           bluestein_single_back_len1690_dim1_dp_op_CI_CI
    .private_segment_fixed_size: 84
    .sgpr_count:     48
    .sgpr_spill_count: 0
    .symbol:         bluestein_single_back_len1690_dim1_dp_op_CI_CI.kd
    .uniform_work_group_size: 1
    .uses_dynamic_stack: false
    .vgpr_count:     256
    .vgpr_spill_count: 20
    .wavefront_size: 32
    .workgroup_processor_mode: 1
amdhsa.target:   amdgcn-amd-amdhsa--gfx1201
amdhsa.version:
  - 1
  - 2
...

	.end_amdgpu_metadata
